;; amdgpu-corpus repo=ROCm/rocFFT kind=compiled arch=gfx906 opt=O3
	.text
	.amdgcn_target "amdgcn-amd-amdhsa--gfx906"
	.amdhsa_code_object_version 6
	.protected	bluestein_single_fwd_len1728_dim1_sp_op_CI_CI ; -- Begin function bluestein_single_fwd_len1728_dim1_sp_op_CI_CI
	.globl	bluestein_single_fwd_len1728_dim1_sp_op_CI_CI
	.p2align	8
	.type	bluestein_single_fwd_len1728_dim1_sp_op_CI_CI,@function
bluestein_single_fwd_len1728_dim1_sp_op_CI_CI: ; @bluestein_single_fwd_len1728_dim1_sp_op_CI_CI
; %bb.0:
	s_load_dwordx4 s[12:15], s[4:5], 0x28
	v_mul_u32_u24_e32 v1, 0x25f, v0
	v_add_u32_sdwa v128, s6, v1 dst_sel:DWORD dst_unused:UNUSED_PAD src0_sel:DWORD src1_sel:WORD_1
	v_mov_b32_e32 v129, 0
	s_waitcnt lgkmcnt(0)
	v_cmp_gt_u64_e32 vcc, s[12:13], v[128:129]
	s_and_saveexec_b64 s[0:1], vcc
	s_cbranch_execz .LBB0_31
; %bb.1:
	s_load_dwordx4 s[0:3], s[4:5], 0x18
	s_load_dwordx2 s[12:13], s[4:5], 0x0
	s_movk_i32 s6, 0x1000
	s_waitcnt lgkmcnt(0)
	s_load_dwordx4 s[8:11], s[0:1], 0x0
	s_movk_i32 s0, 0x6c
	v_mul_lo_u16_sdwa v1, v1, s0 dst_sel:DWORD dst_unused:UNUSED_PAD src0_sel:WORD_1 src1_sel:DWORD
	v_sub_u16_e32 v165, v0, v1
	v_or_b32_e32 v164, 0x480, v165
	s_waitcnt lgkmcnt(0)
	v_mad_u64_u32 v[0:1], s[0:1], s10, v128, 0
	v_mad_u64_u32 v[2:3], s[0:1], s8, v165, 0
	v_lshlrev_b32_e32 v161, 3, v165
	global_load_dwordx2 v[131:132], v161, s[12:13]
	v_mad_u64_u32 v[4:5], s[0:1], s11, v128, v[1:2]
	v_lshlrev_b32_e32 v84, 3, v164
	v_mad_u64_u32 v[5:6], s[0:1], s9, v165, v[3:4]
	v_mov_b32_e32 v1, v4
	v_lshlrev_b64 v[0:1], 3, v[0:1]
	v_mov_b32_e32 v6, s15
	v_mov_b32_e32 v3, v5
	v_add_co_u32_e32 v12, vcc, s14, v0
	v_addc_co_u32_e32 v13, vcc, v6, v1, vcc
	v_lshlrev_b64 v[0:1], 3, v[2:3]
	s_mul_i32 s0, s9, 0x240
	s_mul_hi_u32 s1, s8, 0x240
	v_add_co_u32_e32 v0, vcc, v12, v0
	s_add_i32 s1, s1, s0
	s_mul_i32 s0, s8, 0x240
	v_addc_co_u32_e32 v1, vcc, v13, v1, vcc
	s_lshl_b64 s[14:15], s[0:1], 3
	v_mad_u64_u32 v[4:5], s[0:1], s8, v164, 0
	v_mov_b32_e32 v2, s13
	v_add_co_u32_e32 v162, vcc, s12, v161
	v_addc_co_u32_e32 v163, vcc, 0, v2, vcc
	v_mov_b32_e32 v34, s15
	v_add_co_u32_e32 v2, vcc, s14, v0
	v_addc_co_u32_e32 v3, vcc, v1, v34, vcc
	global_load_dwordx2 v[6:7], v[0:1], off
	global_load_dwordx2 v[8:9], v[2:3], off
	v_mov_b32_e32 v0, v5
	v_mad_u64_u32 v[0:1], s[0:1], s9, v164, v[0:1]
	v_add_co_u32_e32 v10, vcc, s6, v162
	v_mov_b32_e32 v5, v0
	v_lshlrev_b64 v[0:1], 3, v[4:5]
	v_addc_co_u32_e32 v11, vcc, 0, v163, vcc
	v_add_co_u32_e32 v0, vcc, v12, v0
	v_addc_co_u32_e32 v1, vcc, v13, v1, vcc
	global_load_dwordx2 v[4:5], v[0:1], off
	v_mov_b32_e32 v0, 0xfffff160
	v_mad_u64_u32 v[0:1], s[0:1], s8, v0, v[2:3]
	s_mul_i32 s0, s9, 0xfffff160
	s_sub_i32 s0, s0, s8
	v_add_u32_e32 v1, s0, v1
	global_load_dwordx2 v[12:13], v[0:1], off
	v_add_co_u32_e32 v0, vcc, s14, v0
	v_addc_co_u32_e32 v1, vcc, v1, v34, vcc
	v_add_co_u32_e32 v2, vcc, s14, v0
	v_addc_co_u32_e32 v3, vcc, v1, v34, vcc
	s_movk_i32 s0, 0x2000
	s_mul_hi_u32 s1, s8, 0xfffffbec
	global_load_dwordx2 v[135:136], v[10:11], off offset:512
	global_load_dwordx2 v[129:130], v84, s[12:13]
	global_load_dwordx2 v[14:15], v[0:1], off
	global_load_dwordx2 v[16:17], v[2:3], off
	v_add_co_u32_e32 v0, vcc, s0, v162
	s_mul_i32 s0, s9, 0xfffffbec
	s_sub_i32 s1, s1, s8
	s_add_i32 s1, s1, s0
	s_mul_i32 s0, s8, 0xfffffbec
	v_addc_co_u32_e32 v1, vcc, 0, v163, vcc
	s_lshl_b64 s[16:17], s[0:1], 3
	v_mov_b32_e32 v30, s17
	v_add_co_u32_e32 v2, vcc, s16, v2
	v_addc_co_u32_e32 v3, vcc, v3, v30, vcc
	global_load_dwordx2 v[126:127], v[0:1], off offset:1888
	global_load_dwordx2 v[18:19], v[2:3], off
	global_load_dwordx2 v[137:138], v161, s[12:13] offset:864
	global_load_dwordx2 v[124:125], v161, s[12:13] offset:1728
	v_add_co_u32_e32 v2, vcc, s14, v2
	v_addc_co_u32_e32 v3, vcc, v3, v34, vcc
	global_load_dwordx2 v[20:21], v[2:3], off
	global_load_dwordx2 v[133:134], v[10:11], off offset:1376
	global_load_dwordx2 v[122:123], v[10:11], off offset:2240
	v_add_co_u32_e32 v2, vcc, s14, v2
	v_addc_co_u32_e32 v3, vcc, v3, v34, vcc
	global_load_dwordx2 v[22:23], v[2:3], off
	global_load_dwordx2 v[120:121], v[0:1], off offset:2752
	v_add_co_u32_e32 v2, vcc, s16, v2
	v_addc_co_u32_e32 v3, vcc, v3, v30, vcc
	global_load_dwordx2 v[24:25], v[2:3], off
	global_load_dwordx2 v[118:119], v161, s[12:13] offset:2592
	v_add_co_u32_e32 v2, vcc, s14, v2
	v_addc_co_u32_e32 v3, vcc, v3, v34, vcc
	global_load_dwordx2 v[26:27], v[2:3], off
	global_load_dwordx2 v[116:117], v[10:11], off offset:3104
	v_add_co_u32_e32 v2, vcc, s14, v2
	v_addc_co_u32_e32 v3, vcc, v3, v34, vcc
	global_load_dwordx2 v[28:29], v[2:3], off
	global_load_dwordx2 v[114:115], v[0:1], off offset:3616
	v_add_co_u32_e32 v2, vcc, s16, v2
	v_addc_co_u32_e32 v3, vcc, v3, v30, vcc
	global_load_dwordx2 v[30:31], v[2:3], off
	global_load_dwordx2 v[112:113], v161, s[12:13] offset:3456
	v_add_co_u32_e32 v2, vcc, s14, v2
	v_addc_co_u32_e32 v3, vcc, v3, v34, vcc
	global_load_dwordx2 v[32:33], v[2:3], off
	global_load_dwordx2 v[110:111], v[10:11], off offset:3968
	v_add_co_u32_e32 v2, vcc, s14, v2
	v_addc_co_u32_e32 v3, vcc, v3, v34, vcc
	s_movk_i32 s0, 0x3000
	v_add_co_u32_e32 v10, vcc, s0, v162
	v_addc_co_u32_e32 v11, vcc, 0, v163, vcc
	global_load_dwordx2 v[34:35], v[2:3], off
	global_load_dwordx2 v[108:109], v[10:11], off offset:384
	s_waitcnt vmcnt(28)
	v_mul_f32_e32 v10, v7, v132
	v_fmac_f32_e32 v10, v6, v131
	v_mul_f32_e32 v6, v6, v132
	v_fma_f32 v11, v7, v131, -v6
	s_load_dwordx2 s[6:7], s[4:5], 0x38
	s_load_dwordx4 s[8:11], s[2:3], 0x0
	v_cmp_gt_u16_e64 s[0:1], 36, v165
	s_waitcnt vmcnt(24)
	v_mul_f32_e32 v6, v9, v136
	v_mul_f32_e32 v7, v8, v136
	v_fmac_f32_e32 v6, v8, v135
	v_fma_f32 v7, v9, v135, -v7
	ds_write_b64 v161, v[6:7] offset:4608
	s_waitcnt vmcnt(23)
	v_mul_f32_e32 v6, v5, v130
	v_fmac_f32_e32 v6, v4, v129
	v_mul_f32_e32 v4, v4, v130
	v_fma_f32 v7, v5, v129, -v4
	ds_write_b64 v161, v[6:7] offset:9216
	v_add_u32_e32 v9, 0x2400, v161
	s_waitcnt vmcnt(18)
	v_mul_f32_e32 v4, v13, v138
	v_mul_f32_e32 v5, v12, v138
	v_fmac_f32_e32 v4, v12, v137
	v_fma_f32 v5, v13, v137, -v5
	s_waitcnt vmcnt(17)
	v_mul_f32_e32 v8, v18, v125
	ds_write2_b64 v161, v[10:11], v[4:5] offset1:108
	s_waitcnt vmcnt(15)
	v_mul_f32_e32 v4, v15, v134
	v_mul_f32_e32 v5, v14, v134
	v_fma_f32 v11, v19, v124, -v8
	s_waitcnt vmcnt(14)
	v_mul_f32_e32 v12, v21, v123
	v_mul_f32_e32 v8, v20, v123
	v_fmac_f32_e32 v4, v14, v133
	v_fma_f32 v5, v15, v133, -v5
	v_fmac_f32_e32 v12, v20, v122
	v_fma_f32 v13, v21, v122, -v8
	v_add_u32_e32 v8, 0x1400, v161
	v_mul_f32_e32 v6, v17, v127
	v_mul_f32_e32 v7, v16, v127
	ds_write2_b64 v8, v[4:5], v[12:13] offset0:44 offset1:152
	s_waitcnt vmcnt(12)
	v_mul_f32_e32 v4, v23, v121
	v_mul_f32_e32 v5, v22, v121
	v_fmac_f32_e32 v6, v16, v126
	v_fma_f32 v7, v17, v126, -v7
	v_fmac_f32_e32 v4, v22, v120
	v_fma_f32 v5, v23, v120, -v5
	v_mul_f32_e32 v10, v19, v125
	ds_write2_b64 v9, v[6:7], v[4:5] offset0:108 offset1:216
	s_waitcnt vmcnt(10)
	v_mul_f32_e32 v4, v25, v119
	v_mul_f32_e32 v5, v24, v119
	v_fmac_f32_e32 v10, v18, v124
	v_fmac_f32_e32 v4, v24, v118
	v_fma_f32 v5, v25, v118, -v5
	v_add_u32_e32 v9, 0x400, v161
	ds_write2_b64 v9, v[10:11], v[4:5] offset0:88 offset1:196
	s_waitcnt vmcnt(4)
	v_mul_f32_e32 v10, v31, v113
	v_mul_f32_e32 v11, v30, v113
	v_fmac_f32_e32 v10, v30, v112
	v_fma_f32 v11, v31, v112, -v11
	v_mul_f32_e32 v4, v27, v117
	v_mul_f32_e32 v5, v26, v117
	ds_write_b64 v161, v[10:11] offset:3456
	s_waitcnt vmcnt(2)
	v_mul_f32_e32 v11, v33, v111
	v_mul_f32_e32 v10, v32, v111
	v_fmac_f32_e32 v4, v26, v116
	v_fma_f32 v5, v27, v116, -v5
	v_fmac_f32_e32 v11, v32, v110
	v_fma_f32 v12, v33, v110, -v10
	v_add_u32_e32 v10, 0x1800, v161
	v_mul_f32_e32 v6, v29, v115
	v_mul_f32_e32 v7, v28, v115
	ds_write2_b64 v10, v[4:5], v[11:12] offset0:132 offset1:240
	s_waitcnt vmcnt(0)
	v_mul_f32_e32 v4, v35, v109
	v_mul_f32_e32 v5, v34, v109
	v_fmac_f32_e32 v6, v28, v114
	v_fma_f32 v7, v29, v114, -v7
	v_fmac_f32_e32 v4, v34, v108
	v_fma_f32 v5, v35, v108, -v5
	v_add_u32_e32 v11, 0x2c00, v161
	ds_write2_b64 v11, v[6:7], v[4:5] offset0:68 offset1:176
	s_and_saveexec_b64 s[2:3], s[0:1]
	s_cbranch_execz .LBB0_3
; %bb.2:
	v_mov_b32_e32 v4, s17
	v_add_co_u32_e32 v2, vcc, s16, v2
	v_addc_co_u32_e32 v3, vcc, v3, v4, vcc
	v_add_co_u32_e32 v6, vcc, 0x1000, v162
	v_addc_co_u32_e32 v7, vcc, 0, v163, vcc
	global_load_dwordx2 v[4:5], v[2:3], off
	v_mov_b32_e32 v15, s15
	v_add_co_u32_e32 v2, vcc, s14, v2
	v_addc_co_u32_e32 v3, vcc, v3, v15, vcc
	global_load_dwordx2 v[6:7], v[6:7], off offset:224
	s_nop 0
	global_load_dwordx2 v[11:12], v[2:3], off
	global_load_dwordx2 v[13:14], v[0:1], off offset:736
	v_add_co_u32_e32 v0, vcc, s14, v2
	v_addc_co_u32_e32 v1, vcc, v3, v15, vcc
	v_add_co_u32_e32 v2, vcc, 0x3000, v162
	v_addc_co_u32_e32 v3, vcc, 0, v163, vcc
	global_load_dwordx2 v[15:16], v[2:3], off offset:1248
	global_load_dwordx2 v[17:18], v[0:1], off
	v_add_u32_e32 v19, 0xe0, v161
	s_waitcnt vmcnt(4)
	v_mul_f32_e32 v0, v5, v7
	v_mul_f32_e32 v1, v4, v7
	v_fmac_f32_e32 v0, v4, v6
	v_fma_f32 v1, v5, v6, -v1
	s_waitcnt vmcnt(2)
	v_mul_f32_e32 v2, v12, v14
	v_mul_f32_e32 v3, v11, v14
	v_fmac_f32_e32 v2, v11, v13
	v_fma_f32 v3, v12, v13, -v3
	ds_write2st64_b64 v19, v[0:1], v[2:3] offset0:8 offset1:17
	s_waitcnt vmcnt(0)
	v_mul_f32_e32 v4, v18, v16
	v_mul_f32_e32 v5, v17, v16
	v_fmac_f32_e32 v4, v17, v15
	v_fma_f32 v5, v18, v15, -v5
	ds_write_b64 v161, v[4:5] offset:13536
.LBB0_3:
	s_or_b64 exec, exec, s[2:3]
	v_add_u32_e32 v0, 0xc00, v161
	s_waitcnt lgkmcnt(0)
	s_barrier
	ds_read2_b64 v[20:23], v0 offset0:48 offset1:192
	v_add_u32_e32 v0, 0x2000, v161
	ds_read2_b64 v[4:7], v161 offset1:108
	ds_read2_b64 v[28:31], v0 offset0:128 offset1:236
	ds_read2_b64 v[24:27], v8 offset0:44 offset1:152
	;; [unrolled: 1-line block ×3, first 2 shown]
	v_add_u32_e32 v8, 0x2800, v161
	ds_read2_b64 v[12:15], v8 offset0:88 offset1:196
	ds_read2_b64 v[8:11], v10 offset0:132 offset1:240
	ds_read_b64 v[34:35], v161 offset:12672
                                        ; implicit-def: $vgpr16
                                        ; implicit-def: $vgpr32
	s_and_saveexec_b64 s[2:3], s[0:1]
	s_cbranch_execz .LBB0_5
; %bb.4:
	v_add_u32_e32 v16, 0xe0, v161
	ds_read2st64_b64 v[16:19], v16 offset0:8 offset1:17
	ds_read_b64 v[32:33], v161 offset:13536
.LBB0_5:
	s_or_b64 exec, exec, s[2:3]
	s_waitcnt lgkmcnt(5)
	v_add_f32_e32 v37, v22, v28
	v_add_f32_e32 v36, v4, v22
	v_fma_f32 v4, -0.5, v37, v4
	v_sub_f32_e32 v37, v23, v29
	v_mov_b32_e32 v38, v4
	v_fmac_f32_e32 v38, 0x3f5db3d7, v37
	v_fmac_f32_e32 v4, 0xbf5db3d7, v37
	v_add_f32_e32 v37, v5, v23
	v_add_f32_e32 v23, v23, v29
	v_fma_f32 v5, -0.5, v23, v5
	v_sub_f32_e32 v22, v22, v28
	v_mov_b32_e32 v39, v5
	s_waitcnt lgkmcnt(4)
	v_add_f32_e32 v23, v24, v30
	v_fmac_f32_e32 v39, 0xbf5db3d7, v22
	v_fmac_f32_e32 v5, 0x3f5db3d7, v22
	v_add_f32_e32 v22, v6, v24
	v_fma_f32 v6, -0.5, v23, v6
	v_add_f32_e32 v36, v36, v28
	v_sub_f32_e32 v23, v25, v31
	v_mov_b32_e32 v28, v6
	v_fmac_f32_e32 v28, 0x3f5db3d7, v23
	v_fmac_f32_e32 v6, 0xbf5db3d7, v23
	v_add_f32_e32 v23, v7, v25
	v_add_f32_e32 v25, v25, v31
	v_fmac_f32_e32 v7, -0.5, v25
	v_add_f32_e32 v37, v37, v29
	v_sub_f32_e32 v24, v24, v30
	v_mov_b32_e32 v29, v7
	s_waitcnt lgkmcnt(2)
	v_add_f32_e32 v25, v26, v12
	v_fmac_f32_e32 v29, 0xbf5db3d7, v24
	v_fmac_f32_e32 v7, 0x3f5db3d7, v24
	v_add_f32_e32 v24, v0, v26
	v_fma_f32 v0, -0.5, v25, v0
	v_add_f32_e32 v22, v22, v30
	v_sub_f32_e32 v25, v27, v13
	v_mov_b32_e32 v30, v0
	v_fmac_f32_e32 v30, 0x3f5db3d7, v25
	v_fmac_f32_e32 v0, 0xbf5db3d7, v25
	v_add_f32_e32 v25, v1, v27
	v_add_f32_e32 v25, v25, v13
	;; [unrolled: 1-line block ×3, first 2 shown]
	v_fma_f32 v1, -0.5, v13, v1
	v_add_f32_e32 v23, v23, v31
	v_add_f32_e32 v24, v24, v12
	v_sub_f32_e32 v12, v26, v12
	v_mov_b32_e32 v31, v1
	s_waitcnt lgkmcnt(1)
	v_add_f32_e32 v13, v8, v14
	v_fmac_f32_e32 v31, 0xbf5db3d7, v12
	v_fmac_f32_e32 v1, 0x3f5db3d7, v12
	v_add_f32_e32 v12, v2, v8
	v_fma_f32 v2, -0.5, v13, v2
	v_sub_f32_e32 v13, v9, v15
	v_mov_b32_e32 v26, v2
	v_fmac_f32_e32 v26, 0x3f5db3d7, v13
	v_fmac_f32_e32 v2, 0xbf5db3d7, v13
	v_add_f32_e32 v13, v3, v9
	v_add_f32_e32 v9, v9, v15
	v_fmac_f32_e32 v3, -0.5, v9
	v_sub_f32_e32 v8, v8, v14
	v_mov_b32_e32 v27, v3
	v_fmac_f32_e32 v27, 0xbf5db3d7, v8
	v_fmac_f32_e32 v3, 0x3f5db3d7, v8
	v_add_f32_e32 v8, v20, v10
	s_waitcnt lgkmcnt(0)
	v_add_f32_e32 v48, v8, v34
	v_add_f32_e32 v8, v10, v34
	v_fma_f32 v20, -0.5, v8, v20
	v_sub_f32_e32 v8, v11, v35
	v_mov_b32_e32 v50, v20
	v_fmac_f32_e32 v50, 0x3f5db3d7, v8
	v_fmac_f32_e32 v20, 0xbf5db3d7, v8
	v_add_f32_e32 v8, v21, v11
	v_add_f32_e32 v49, v8, v35
	v_add_f32_e32 v8, v11, v35
	v_fmac_f32_e32 v21, -0.5, v8
	v_sub_f32_e32 v8, v10, v34
	v_mov_b32_e32 v51, v21
	v_fmac_f32_e32 v51, 0xbf5db3d7, v8
	v_fmac_f32_e32 v21, 0x3f5db3d7, v8
	v_add_f32_e32 v8, v16, v18
	v_add_f32_e32 v52, v8, v32
	v_add_f32_e32 v8, v18, v32
	v_fmac_f32_e32 v16, -0.5, v8
	v_sub_f32_e32 v8, v19, v33
	v_mov_b32_e32 v54, v16
	v_fmac_f32_e32 v54, 0x3f5db3d7, v8
	v_fmac_f32_e32 v16, 0xbf5db3d7, v8
	v_add_f32_e32 v8, v17, v19
	v_add_f32_e32 v53, v8, v33
	v_add_f32_e32 v8, v19, v33
	v_fmac_f32_e32 v17, -0.5, v8
	v_sub_f32_e32 v8, v18, v32
	v_mov_b32_e32 v55, v17
	v_fmac_f32_e32 v55, 0xbf5db3d7, v8
	v_fmac_f32_e32 v17, 0x3f5db3d7, v8
	v_mul_lo_u16_e32 v8, 3, v165
	v_add_co_u32_e32 v85, vcc, 0x6c, v165
	v_lshlrev_b32_e32 v168, 3, v8
	v_add_co_u32_e32 v86, vcc, 0xd8, v165
	s_barrier
	ds_write2_b64 v168, v[36:37], v[38:39] offset1:1
	ds_write_b64 v168, v[4:5] offset:16
	v_mul_u32_u24_e32 v4, 3, v85
	s_load_dwordx2 s[4:5], s[4:5], 0x8
	v_lshlrev_b32_e32 v169, 3, v4
	v_mul_u32_u24_e32 v4, 3, v86
	v_add_u32_e32 v40, 0x144, v165
	v_lshlrev_b32_e32 v170, 3, v4
	v_add_u32_e32 v41, 0x1b0, v165
	s_movk_i32 s2, 0x21c
	ds_write2_b64 v169, v[22:23], v[28:29] offset1:1
	ds_write_b64 v169, v[6:7] offset:16
	ds_write2_b64 v170, v[24:25], v[30:31] offset1:1
	ds_write_b64 v170, v[0:1] offset:16
	v_mul_u32_u24_e32 v0, 3, v40
	v_add_co_u32_e32 v42, vcc, s2, v165
	v_lshlrev_b32_e32 v171, 3, v0
	v_mul_u32_u24_e32 v0, 3, v41
	v_add_f32_e32 v12, v12, v14
	v_add_f32_e32 v13, v13, v15
	v_lshlrev_b32_e32 v172, 3, v0
	v_mul_u32_u24_e32 v173, 3, v42
	ds_write2_b64 v171, v[12:13], v[26:27] offset1:1
	ds_write_b64 v171, v[2:3] offset:16
	ds_write2_b64 v172, v[48:49], v[50:51] offset1:1
	ds_write_b64 v172, v[20:21] offset:16
	s_and_saveexec_b64 s[2:3], s[0:1]
	s_cbranch_execz .LBB0_7
; %bb.6:
	v_lshlrev_b32_e32 v0, 3, v173
	ds_write2_b64 v0, v[52:53], v[54:55] offset1:1
	ds_write_b64 v0, v[16:17] offset:16
.LBB0_7:
	s_or_b64 exec, exec, s[2:3]
	v_add_u32_e32 v0, 0x800, v161
	s_waitcnt lgkmcnt(0)
	s_barrier
	ds_read2_b64 v[22:25], v0 offset0:32 offset1:140
	v_add_u32_e32 v0, 0x1000, v161
	ds_read2_b64 v[26:29], v0 offset0:64 offset1:172
	v_add_u32_e32 v0, 0x1800, v161
	;; [unrolled: 2-line block ×4, first 2 shown]
	ds_read2_b64 v[32:35], v161 offset1:108
	ds_read2_b64 v[44:47], v0 offset0:32 offset1:140
	s_movk_i32 s2, 0x48
	v_cmp_gt_u16_e64 s[2:3], s2, v165
	s_and_saveexec_b64 s[14:15], s[2:3]
	s_cbranch_execz .LBB0_9
; %bb.8:
	ds_read_b64 v[48:49], v161 offset:1728
	ds_read_b64 v[50:51], v161 offset:4032
	;; [unrolled: 1-line block ×6, first 2 shown]
.LBB0_9:
	s_or_b64 exec, exec, s[14:15]
	s_movk_i32 s16, 0xab
	v_mul_lo_u16_sdwa v0, v165, s16 dst_sel:DWORD dst_unused:UNUSED_PAD src0_sel:BYTE_0 src1_sel:DWORD
	v_lshrrev_b16_e32 v56, 9, v0
	v_mul_lo_u16_e32 v0, 3, v56
	v_sub_u16_e32 v0, v165, v0
	v_and_b32_e32 v57, 0xff, v0
	v_mad_u64_u32 v[4:5], s[14:15], v57, 40, s[4:5]
	global_load_dwordx2 v[139:140], v[4:5], off offset:32
	global_load_dwordx4 v[0:3], v[4:5], off offset:16
	global_load_dwordx4 v[8:11], v[4:5], off
	s_waitcnt vmcnt(0) lgkmcnt(5)
	v_mul_f32_e32 v4, v23, v9
	v_fma_f32 v58, v22, v8, -v4
	v_mul_f32_e32 v22, v22, v9
	s_waitcnt lgkmcnt(4)
	v_mul_f32_e32 v4, v27, v11
	v_fmac_f32_e32 v22, v23, v8
	v_fma_f32 v23, v26, v10, -v4
	s_waitcnt lgkmcnt(3)
	v_mul_f32_e32 v4, v37, v1
	v_fma_f32 v60, v36, v0, -v4
	v_mul_f32_e32 v36, v36, v1
	s_waitcnt lgkmcnt(2)
	v_mul_f32_e32 v4, v41, v3
	v_fmac_f32_e32 v36, v37, v0
	v_fma_f32 v37, v40, v2, -v4
	v_mul_f32_e32 v40, v40, v3
	s_waitcnt lgkmcnt(0)
	v_mul_f32_e32 v4, v45, v140
	v_fmac_f32_e32 v40, v41, v2
	v_fma_f32 v41, v44, v139, -v4
	v_mul_lo_u16_sdwa v4, v85, s16 dst_sel:DWORD dst_unused:UNUSED_PAD src0_sel:BYTE_0 src1_sel:DWORD
	v_lshrrev_b16_e32 v61, 9, v4
	v_mul_lo_u16_e32 v4, 3, v61
	v_sub_u16_e32 v4, v85, v4
	v_and_b32_e32 v62, 0xff, v4
	v_mad_u64_u32 v[18:19], s[14:15], v62, 40, s[4:5]
	global_load_dwordx2 v[141:142], v[18:19], off offset:32
	global_load_dwordx4 v[4:7], v[18:19], off offset:16
	global_load_dwordx4 v[12:15], v[18:19], off
	v_mul_f32_e32 v44, v44, v140
	v_fmac_f32_e32 v44, v45, v139
	s_mov_b32 s14, 0xaaab
	v_mov_b32_e32 v19, s5
	v_mul_f32_e32 v59, v26, v11
	v_fmac_f32_e32 v59, v27, v10
	s_waitcnt vmcnt(0)
	v_mul_f32_e32 v18, v25, v13
	v_fma_f32 v45, v24, v12, -v18
	v_mul_f32_e32 v18, v29, v15
	v_fma_f32 v64, v28, v14, -v18
	;; [unrolled: 2-line block ×3, first 2 shown]
	v_mul_f32_e32 v38, v38, v5
	v_mul_f32_e32 v18, v43, v7
	v_fmac_f32_e32 v38, v39, v4
	v_fma_f32 v39, v42, v6, -v18
	v_mul_f32_e32 v42, v42, v7
	v_mul_f32_e32 v18, v47, v142
	v_fmac_f32_e32 v42, v43, v6
	v_fma_f32 v43, v46, v141, -v18
	v_mul_u32_u24_sdwa v18, v86, s14 dst_sel:DWORD dst_unused:UNUSED_PAD src0_sel:WORD_0 src1_sel:DWORD
	v_lshrrev_b32_e32 v67, 17, v18
	v_mul_lo_u16_e32 v18, 3, v67
	v_sub_u16_e32 v68, v86, v18
	v_mul_lo_u16_e32 v18, 40, v68
	v_add_co_u32_e32 v18, vcc, s4, v18
	v_mul_f32_e32 v63, v24, v13
	v_mul_f32_e32 v65, v28, v15
	v_addc_co_u32_e32 v19, vcc, 0, v19, vcc
	v_fmac_f32_e32 v63, v25, v12
	v_fmac_f32_e32 v65, v29, v14
	global_load_dwordx2 v[145:146], v[18:19], off offset:32
	global_load_dwordx4 v[24:27], v[18:19], off offset:16
	global_load_dwordx4 v[28:31], v[18:19], off
	v_mul_f32_e32 v46, v46, v142
	v_fmac_f32_e32 v46, v47, v141
	s_waitcnt vmcnt(0)
	s_barrier
	v_mad_legacy_u16 v176, v67, 18, v68
	v_mul_f32_e32 v72, v16, v146
	v_fmac_f32_e32 v72, v17, v145
	v_mul_f32_e32 v18, v51, v29
	v_fma_f32 v69, v50, v28, -v18
	v_mul_f32_e32 v50, v50, v29
	v_mul_f32_e32 v18, v21, v31
	v_fmac_f32_e32 v50, v51, v28
	v_fma_f32 v51, v20, v30, -v18
	v_mul_f32_e32 v18, v53, v25
	v_fma_f32 v71, v52, v24, -v18
	v_mul_f32_e32 v52, v52, v25
	v_mul_f32_e32 v18, v55, v27
	v_fmac_f32_e32 v52, v53, v24
	v_fma_f32 v53, v54, v26, -v18
	v_mul_f32_e32 v54, v54, v27
	v_mul_f32_e32 v18, v17, v146
	v_fmac_f32_e32 v54, v55, v26
	v_fma_f32 v55, v16, v145, -v18
	v_add_f32_e32 v16, v32, v23
	v_add_f32_e32 v47, v16, v37
	;; [unrolled: 1-line block ×3, first 2 shown]
	v_fma_f32 v73, -0.5, v16, v32
	v_sub_f32_e32 v16, v59, v40
	v_mov_b32_e32 v32, v73
	v_fmac_f32_e32 v32, 0x3f5db3d7, v16
	v_fmac_f32_e32 v73, 0xbf5db3d7, v16
	v_add_f32_e32 v16, v33, v59
	v_add_f32_e32 v74, v16, v40
	;; [unrolled: 1-line block ×3, first 2 shown]
	v_fma_f32 v40, -0.5, v16, v33
	v_sub_f32_e32 v16, v23, v37
	v_mov_b32_e32 v33, v40
	v_fmac_f32_e32 v33, 0xbf5db3d7, v16
	v_fmac_f32_e32 v40, 0x3f5db3d7, v16
	v_add_f32_e32 v16, v58, v60
	v_add_f32_e32 v23, v16, v41
	;; [unrolled: 1-line block ×3, first 2 shown]
	v_fmac_f32_e32 v58, -0.5, v16
	v_sub_f32_e32 v16, v36, v44
	v_mov_b32_e32 v19, v58
	v_fmac_f32_e32 v19, 0x3f5db3d7, v16
	v_fmac_f32_e32 v58, 0xbf5db3d7, v16
	v_add_f32_e32 v16, v22, v36
	v_add_f32_e32 v37, v16, v44
	;; [unrolled: 1-line block ×3, first 2 shown]
	v_mul_f32_e32 v70, v20, v31
	v_fmac_f32_e32 v22, -0.5, v16
	v_sub_f32_e32 v16, v60, v41
	v_fmac_f32_e32 v70, v21, v30
	v_mov_b32_e32 v21, v22
	v_fmac_f32_e32 v22, 0x3f5db3d7, v16
	v_mul_f32_e32 v59, -0.5, v22
	v_fmac_f32_e32 v21, 0xbf5db3d7, v16
	v_mul_f32_e32 v41, -0.5, v58
	v_mul_f32_e32 v44, 0xbf5db3d7, v19
	v_fmac_f32_e32 v59, 0xbf5db3d7, v58
	v_add_f32_e32 v16, v47, v23
	v_mul_f32_e32 v36, 0x3f5db3d7, v21
	v_fmac_f32_e32 v41, 0x3f5db3d7, v22
	v_add_f32_e32 v17, v74, v37
	v_fmac_f32_e32 v44, 0.5, v21
	v_add_f32_e32 v21, v40, v59
	v_sub_f32_e32 v22, v47, v23
	v_sub_f32_e32 v23, v74, v37
	;; [unrolled: 1-line block ×3, first 2 shown]
	v_add_f32_e32 v40, v34, v64
	v_fmac_f32_e32 v36, 0.5, v19
	v_add_f32_e32 v19, v33, v44
	v_sub_f32_e32 v33, v33, v44
	v_add_f32_e32 v44, v40, v39
	v_add_f32_e32 v40, v64, v39
	v_fma_f32 v34, -0.5, v40, v34
	v_sub_f32_e32 v40, v65, v42
	v_mov_b32_e32 v47, v34
	v_fmac_f32_e32 v47, 0x3f5db3d7, v40
	v_fmac_f32_e32 v34, 0xbf5db3d7, v40
	v_add_f32_e32 v40, v35, v65
	v_add_f32_e32 v58, v40, v42
	;; [unrolled: 1-line block ×3, first 2 shown]
	v_fmac_f32_e32 v35, -0.5, v40
	v_sub_f32_e32 v39, v64, v39
	v_mov_b32_e32 v59, v35
	v_fmac_f32_e32 v59, 0xbf5db3d7, v39
	v_fmac_f32_e32 v35, 0x3f5db3d7, v39
	v_add_f32_e32 v39, v45, v66
	v_add_f32_e32 v60, v39, v43
	;; [unrolled: 1-line block ×3, first 2 shown]
	v_fmac_f32_e32 v45, -0.5, v39
	v_add_f32_e32 v18, v32, v36
	v_add_f32_e32 v20, v73, v41
	v_sub_f32_e32 v32, v32, v36
	v_sub_f32_e32 v36, v73, v41
	;; [unrolled: 1-line block ×3, first 2 shown]
	v_mov_b32_e32 v41, v45
	v_fmac_f32_e32 v41, 0x3f5db3d7, v39
	v_fmac_f32_e32 v45, 0xbf5db3d7, v39
	v_add_f32_e32 v39, v63, v38
	v_add_f32_e32 v38, v38, v46
	v_fmac_f32_e32 v63, -0.5, v38
	v_sub_f32_e32 v38, v66, v43
	v_mov_b32_e32 v43, v63
	v_fmac_f32_e32 v43, 0xbf5db3d7, v38
	v_add_f32_e32 v64, v39, v46
	v_mul_f32_e32 v46, 0x3f5db3d7, v43
	v_mul_f32_e32 v66, 0xbf5db3d7, v41
	v_fmac_f32_e32 v63, 0x3f5db3d7, v38
	v_fmac_f32_e32 v46, 0.5, v41
	v_mul_f32_e32 v65, -0.5, v45
	v_fmac_f32_e32 v66, 0.5, v43
	v_add_f32_e32 v40, v47, v46
	v_fmac_f32_e32 v65, 0x3f5db3d7, v63
	v_add_f32_e32 v41, v59, v66
	v_mul_f32_e32 v63, -0.5, v63
	v_sub_f32_e32 v46, v47, v46
	v_sub_f32_e32 v47, v59, v66
	v_add_f32_e32 v59, v51, v53
	v_add_f32_e32 v39, v58, v64
	v_fmac_f32_e32 v63, 0xbf5db3d7, v45
	v_sub_f32_e32 v45, v58, v64
	v_add_f32_e32 v58, v48, v51
	v_fmac_f32_e32 v48, -0.5, v59
	v_add_f32_e32 v38, v44, v60
	v_sub_f32_e32 v44, v44, v60
	v_sub_f32_e32 v59, v70, v54
	v_mov_b32_e32 v60, v48
	v_fmac_f32_e32 v60, 0x3f5db3d7, v59
	v_fmac_f32_e32 v48, 0xbf5db3d7, v59
	v_add_f32_e32 v59, v49, v70
	v_add_f32_e32 v59, v59, v54
	;; [unrolled: 1-line block ×3, first 2 shown]
	v_fmac_f32_e32 v49, -0.5, v54
	v_add_f32_e32 v58, v58, v53
	v_sub_f32_e32 v51, v51, v53
	v_mov_b32_e32 v53, v49
	v_add_f32_e32 v54, v71, v55
	v_fmac_f32_e32 v53, 0xbf5db3d7, v51
	v_fmac_f32_e32 v49, 0x3f5db3d7, v51
	v_add_f32_e32 v51, v69, v71
	v_fmac_f32_e32 v69, -0.5, v54
	v_add_f32_e32 v43, v35, v63
	v_sub_f32_e32 v35, v35, v63
	v_sub_f32_e32 v54, v52, v72
	v_mov_b32_e32 v63, v69
	v_fmac_f32_e32 v63, 0x3f5db3d7, v54
	v_fmac_f32_e32 v69, 0xbf5db3d7, v54
	v_add_f32_e32 v54, v50, v52
	v_add_f32_e32 v52, v52, v72
	v_fmac_f32_e32 v50, -0.5, v52
	v_sub_f32_e32 v52, v71, v55
	v_add_f32_e32 v51, v51, v55
	v_mov_b32_e32 v55, v50
	v_fmac_f32_e32 v50, 0x3f5db3d7, v52
	v_mul_f32_e32 v64, -0.5, v69
	v_fmac_f32_e32 v55, 0xbf5db3d7, v52
	v_fmac_f32_e32 v64, 0x3f5db3d7, v50
	v_mul_f32_e32 v52, 0x3f5db3d7, v55
	v_add_f32_e32 v78, v48, v64
	v_sub_f32_e32 v74, v48, v64
	v_mul_u32_u24_e32 v48, 18, v56
	v_fmac_f32_e32 v52, 0.5, v63
	v_mul_f32_e32 v63, 0xbf5db3d7, v63
	v_mul_f32_e32 v50, -0.5, v50
	v_add_lshl_u32 v174, v48, v57, 3
	v_add_f32_e32 v54, v54, v72
	v_fmac_f32_e32 v63, 0.5, v55
	v_fmac_f32_e32 v50, 0xbf5db3d7, v69
	ds_write2_b64 v174, v[16:17], v[18:19] offset1:3
	ds_write2_b64 v174, v[20:21], v[22:23] offset0:6 offset1:9
	ds_write2_b64 v174, v[32:33], v[36:37] offset0:12 offset1:15
	v_mul_u32_u24_e32 v16, 18, v61
	v_add_f32_e32 v72, v58, v51
	v_add_f32_e32 v76, v60, v52
	;; [unrolled: 1-line block ×5, first 2 shown]
	v_sub_f32_e32 v80, v58, v51
	v_sub_f32_e32 v82, v60, v52
	v_sub_f32_e32 v81, v59, v54
	v_sub_f32_e32 v83, v53, v63
	v_sub_f32_e32 v75, v49, v50
	v_add_lshl_u32 v175, v16, v62, 3
	v_add_f32_e32 v42, v34, v65
	v_sub_f32_e32 v34, v34, v65
	ds_write2_b64 v175, v[38:39], v[40:41] offset1:3
	ds_write2_b64 v175, v[42:43], v[44:45] offset0:6 offset1:9
	ds_write2_b64 v175, v[46:47], v[34:35] offset0:12 offset1:15
	s_and_saveexec_b64 s[14:15], s[2:3]
	s_cbranch_execz .LBB0_11
; %bb.10:
	v_lshlrev_b32_e32 v16, 3, v176
	ds_write2_b64 v16, v[72:73], v[76:77] offset1:3
	ds_write2_b64 v16, v[78:79], v[80:81] offset0:6 offset1:9
	ds_write2_b64 v16, v[82:83], v[74:75] offset0:12 offset1:15
.LBB0_11:
	s_or_b64 exec, exec, s[14:15]
	v_add_u32_e32 v16, 0x800, v161
	s_waitcnt lgkmcnt(0)
	s_barrier
	ds_read2_b64 v[52:55], v16 offset0:32 offset1:140
	v_add_u32_e32 v16, 0x1000, v161
	ds_read2_b64 v[56:59], v16 offset0:64 offset1:172
	v_add_u32_e32 v16, 0x1800, v161
	;; [unrolled: 2-line block ×4, first 2 shown]
	ds_read2_b64 v[44:47], v161 offset1:108
	ds_read2_b64 v[68:71], v16 offset0:32 offset1:140
	s_and_saveexec_b64 s[14:15], s[2:3]
	s_cbranch_execz .LBB0_13
; %bb.12:
	ds_read_b64 v[72:73], v161 offset:1728
	ds_read_b64 v[76:77], v161 offset:4032
	ds_read_b64 v[78:79], v161 offset:6336
	ds_read_b64 v[80:81], v161 offset:8640
	ds_read_b64 v[82:83], v161 offset:10944
	ds_read_b64 v[74:75], v161 offset:13248
.LBB0_13:
	s_or_b64 exec, exec, s[14:15]
	s_mov_b32 s14, 0xe38f
	v_mul_u32_u24_sdwa v16, v86, s14 dst_sel:DWORD dst_unused:UNUSED_PAD src0_sel:WORD_0 src1_sel:DWORD
	v_lshrrev_b32_e32 v166, 20, v16
	v_mul_lo_u16_e32 v16, 18, v166
	v_sub_u16_e32 v167, v86, v16
	v_mov_b32_e32 v34, 57
	v_mul_lo_u16_e32 v16, 40, v167
	v_mul_lo_u16_sdwa v35, v165, v34 dst_sel:DWORD dst_unused:UNUSED_PAD src0_sel:BYTE_0 src1_sel:DWORD
	v_mov_b32_e32 v17, s5
	v_add_co_u32_e32 v32, vcc, s4, v16
	v_lshrrev_b16_e32 v95, 10, v35
	v_addc_co_u32_e32 v33, vcc, 0, v17, vcc
	v_mul_lo_u16_e32 v35, 18, v95
	global_load_dwordx4 v[16:19], v[32:33], off offset:120
	global_load_dwordx4 v[20:23], v[32:33], off offset:136
	global_load_dwordx2 v[143:144], v[32:33], off offset:152
	v_sub_u16_e32 v32, v165, v35
	v_and_b32_e32 v96, 0xff, v32
	v_mul_lo_u16_sdwa v34, v85, v34 dst_sel:DWORD dst_unused:UNUSED_PAD src0_sel:BYTE_0 src1_sel:DWORD
	v_mad_u64_u32 v[32:33], s[14:15], v96, 40, s[4:5]
	v_lshrrev_b16_e32 v97, 10, v34
	v_mul_lo_u16_e32 v34, 18, v97
	v_sub_u16_e32 v34, v85, v34
	v_and_b32_e32 v98, 0xff, v34
	global_load_dwordx4 v[40:43], v[32:33], off offset:136
	global_load_dwordx4 v[48:51], v[32:33], off offset:120
	v_mad_u64_u32 v[85:86], s[14:15], v98, 40, s[4:5]
	global_load_dwordx2 v[149:150], v[32:33], off offset:152
	global_load_dwordx4 v[36:39], v[85:86], off offset:120
	s_nop 0
	global_load_dwordx4 v[32:35], v[85:86], off offset:136
	global_load_dwordx2 v[147:148], v[85:86], off offset:152
	v_mul_u32_u24_e32 v95, 0x6c, v95
	v_add_lshl_u32 v177, v95, v96, 3
	s_waitcnt vmcnt(0) lgkmcnt(0)
	s_barrier
	s_movk_i32 s16, 0x6c
	v_mul_f32_e32 v89, v77, v17
	v_mul_f32_e32 v87, v80, v21
	;; [unrolled: 1-line block ×5, first 2 shown]
	v_fmac_f32_e32 v87, v81, v20
	v_fma_f32 v81, v82, v22, -v92
	v_mul_f32_e32 v85, v76, v17
	v_mul_f32_e32 v90, v79, v19
	v_fma_f32 v76, v76, v16, -v89
	v_fma_f32 v80, v80, v20, -v91
	v_fmac_f32_e32 v88, v83, v22
	v_mul_f32_e32 v82, v57, v51
	v_mul_f32_e32 v83, v56, v51
	;; [unrolled: 1-line block ×6, first 2 shown]
	v_fma_f32 v56, v56, v50, -v82
	v_fmac_f32_e32 v85, v77, v16
	v_fma_f32 v77, v78, v18, -v90
	v_mul_f32_e32 v90, v60, v41
	v_mul_f32_e32 v100, v55, v37
	;; [unrolled: 1-line block ×3, first 2 shown]
	v_fmac_f32_e32 v83, v57, v50
	v_fma_f32 v57, v60, v40, -v89
	v_fma_f32 v60, v64, v42, -v91
	v_fmac_f32_e32 v101, v55, v36
	v_fma_f32 v55, v58, v38, -v102
	v_add_f32_e32 v58, v44, v56
	v_mul_f32_e32 v92, v64, v43
	v_add_f32_e32 v64, v58, v60
	v_add_f32_e32 v58, v56, v60
	v_fmac_f32_e32 v92, v65, v42
	v_fma_f32 v44, -0.5, v58, v44
	v_sub_f32_e32 v58, v83, v92
	v_mov_b32_e32 v65, v44
	v_mul_f32_e32 v107, v66, v35
	v_fmac_f32_e32 v65, 0x3f5db3d7, v58
	v_fmac_f32_e32 v44, 0xbf5db3d7, v58
	v_add_f32_e32 v58, v45, v83
	v_mul_f32_e32 v94, v69, v150
	v_mul_f32_e32 v106, v67, v35
	v_fmac_f32_e32 v107, v67, v34
	v_add_f32_e32 v67, v58, v92
	v_add_f32_e32 v58, v83, v92
	v_mul_f32_e32 v86, v78, v19
	v_mul_f32_e32 v78, v53, v49
	;; [unrolled: 1-line block ×3, first 2 shown]
	v_fmac_f32_e32 v90, v61, v40
	v_fma_f32 v61, v68, v149, -v94
	v_fma_f32 v45, -0.5, v58, v45
	v_fma_f32 v78, v52, v48, -v78
	v_fmac_f32_e32 v99, v69, v149
	v_sub_f32_e32 v56, v56, v60
	v_mov_b32_e32 v69, v45
	v_add_f32_e32 v58, v57, v61
	v_fmac_f32_e32 v86, v79, v18
	v_mul_f32_e32 v79, v52, v49
	v_mul_f32_e32 v105, v62, v33
	v_fmac_f32_e32 v69, 0xbf5db3d7, v56
	v_fmac_f32_e32 v45, 0x3f5db3d7, v56
	v_add_f32_e32 v56, v78, v57
	v_fmac_f32_e32 v78, -0.5, v58
	v_mul_f32_e32 v104, v63, v33
	v_fmac_f32_e32 v79, v53, v48
	v_fmac_f32_e32 v105, v63, v32
	v_sub_f32_e32 v58, v90, v99
	v_mov_b32_e32 v63, v78
	v_mul_f32_e32 v152, v70, v148
	v_fmac_f32_e32 v63, 0x3f5db3d7, v58
	v_fmac_f32_e32 v78, 0xbf5db3d7, v58
	v_add_f32_e32 v58, v79, v90
	v_mul_f32_e32 v151, v71, v148
	v_fmac_f32_e32 v152, v71, v147
	v_add_f32_e32 v71, v58, v99
	v_add_f32_e32 v58, v90, v99
	v_fmac_f32_e32 v79, -0.5, v58
	v_add_f32_e32 v56, v56, v61
	v_sub_f32_e32 v57, v57, v61
	v_mov_b32_e32 v61, v79
	v_mul_f32_e32 v93, v75, v144
	v_mul_f32_e32 v53, v74, v144
	v_fmac_f32_e32 v61, 0xbf5db3d7, v57
	v_fmac_f32_e32 v79, 0x3f5db3d7, v57
	v_fma_f32 v52, v74, v143, -v93
	v_fmac_f32_e32 v53, v75, v143
	v_mul_f32_e32 v57, 0x3f5db3d7, v61
	v_mul_f32_e32 v74, 0xbf5db3d7, v63
	v_mul_f32_e32 v75, -0.5, v79
	v_fma_f32 v89, v66, v34, -v106
	v_fmac_f32_e32 v57, 0.5, v63
	v_fmac_f32_e32 v74, 0.5, v61
	v_fmac_f32_e32 v75, 0xbf5db3d7, v78
	v_fmac_f32_e32 v103, v59, v38
	v_add_f32_e32 v60, v65, v57
	v_mul_f32_e32 v68, -0.5, v78
	v_add_f32_e32 v59, v67, v71
	v_add_f32_e32 v61, v69, v74
	;; [unrolled: 1-line block ×3, first 2 shown]
	v_sub_f32_e32 v66, v65, v57
	v_sub_f32_e32 v65, v67, v71
	;; [unrolled: 1-line block ×4, first 2 shown]
	v_add_f32_e32 v45, v55, v89
	v_fmac_f32_e32 v68, 0x3f5db3d7, v79
	v_fma_f32 v45, -0.5, v45, v46
	v_fma_f32 v82, v62, v32, -v104
	v_add_f32_e32 v58, v64, v56
	v_add_f32_e32 v62, v44, v68
	v_sub_f32_e32 v64, v64, v56
	v_sub_f32_e32 v68, v44, v68
	v_add_f32_e32 v44, v46, v55
	v_sub_f32_e32 v46, v103, v107
	v_mov_b32_e32 v56, v45
	v_add_f32_e32 v57, v103, v107
	v_fma_f32 v70, v70, v147, -v151
	v_fmac_f32_e32 v56, 0x3f5db3d7, v46
	v_fmac_f32_e32 v45, 0xbf5db3d7, v46
	v_add_f32_e32 v46, v47, v103
	v_fmac_f32_e32 v47, -0.5, v57
	v_fma_f32 v54, v54, v36, -v100
	v_sub_f32_e32 v55, v55, v89
	v_mov_b32_e32 v57, v47
	v_add_f32_e32 v71, v82, v70
	v_fmac_f32_e32 v57, 0xbf5db3d7, v55
	v_fmac_f32_e32 v47, 0x3f5db3d7, v55
	v_add_f32_e32 v55, v54, v82
	v_fmac_f32_e32 v54, -0.5, v71
	v_sub_f32_e32 v71, v105, v152
	v_mov_b32_e32 v75, v54
	v_fmac_f32_e32 v75, 0x3f5db3d7, v71
	v_fmac_f32_e32 v54, 0xbf5db3d7, v71
	v_add_f32_e32 v71, v101, v105
	v_add_f32_e32 v78, v71, v152
	;; [unrolled: 1-line block ×3, first 2 shown]
	v_fmac_f32_e32 v101, -0.5, v71
	v_add_f32_e32 v55, v55, v70
	v_sub_f32_e32 v70, v82, v70
	v_mov_b32_e32 v79, v101
	v_add_f32_e32 v44, v44, v89
	v_fmac_f32_e32 v79, 0xbf5db3d7, v70
	v_fmac_f32_e32 v101, 0x3f5db3d7, v70
	v_add_f32_e32 v70, v44, v55
	v_mul_f32_e32 v90, 0x3f5db3d7, v79
	v_mul_f32_e32 v92, -0.5, v54
	v_sub_f32_e32 v89, v44, v55
	v_add_f32_e32 v44, v77, v81
	v_add_f32_e32 v46, v46, v107
	v_fmac_f32_e32 v90, 0.5, v75
	v_fmac_f32_e32 v92, 0x3f5db3d7, v101
	v_fma_f32 v44, -0.5, v44, v72
	v_add_f32_e32 v74, v56, v90
	v_add_f32_e32 v82, v45, v92
	;; [unrolled: 1-line block ×3, first 2 shown]
	v_mul_f32_e32 v94, 0xbf5db3d7, v75
	v_sub_f32_e32 v91, v56, v90
	v_sub_f32_e32 v93, v45, v92
	;; [unrolled: 1-line block ×4, first 2 shown]
	v_mov_b32_e32 v45, v44
	v_fmac_f32_e32 v94, 0.5, v79
	v_mul_f32_e32 v79, -0.5, v101
	v_fmac_f32_e32 v45, 0x3f5db3d7, v46
	v_fmac_f32_e32 v44, 0xbf5db3d7, v46
	v_add_f32_e32 v46, v86, v88
	v_fmac_f32_e32 v79, 0xbf5db3d7, v54
	v_fma_f32 v46, -0.5, v46, v73
	v_add_f32_e32 v75, v57, v94
	v_add_f32_e32 v83, v47, v79
	v_sub_f32_e32 v92, v57, v94
	v_sub_f32_e32 v94, v47, v79
	;; [unrolled: 1-line block ×3, first 2 shown]
	v_mov_b32_e32 v47, v46
	v_fmac_f32_e32 v47, 0xbf5db3d7, v54
	v_fmac_f32_e32 v46, 0x3f5db3d7, v54
	v_add_f32_e32 v54, v80, v52
	v_fma_f32 v78, -0.5, v54, v76
	v_sub_f32_e32 v54, v87, v53
	v_mov_b32_e32 v56, v78
	v_fmac_f32_e32 v56, 0x3f5db3d7, v54
	v_fmac_f32_e32 v78, 0xbf5db3d7, v54
	v_add_f32_e32 v54, v87, v53
	v_fma_f32 v57, -0.5, v54, v85
	v_sub_f32_e32 v54, v80, v52
	v_mov_b32_e32 v79, v57
	v_fmac_f32_e32 v79, 0xbf5db3d7, v54
	v_fmac_f32_e32 v57, 0x3f5db3d7, v54
	v_mul_f32_e32 v54, 0x3f5db3d7, v79
	v_mul_f32_e32 v55, -0.5, v78
	v_fmac_f32_e32 v54, 0.5, v56
	v_fmac_f32_e32 v55, 0x3f5db3d7, v57
	v_mul_f32_e32 v56, 0xbf5db3d7, v56
	v_mul_f32_e32 v57, -0.5, v57
	v_fmac_f32_e32 v56, 0.5, v79
	v_fmac_f32_e32 v57, 0xbf5db3d7, v78
	ds_write2_b64 v177, v[58:59], v[60:61] offset1:18
	ds_write2_b64 v177, v[62:63], v[64:65] offset0:36 offset1:54
	ds_write2_b64 v177, v[66:67], v[68:69] offset0:72 offset1:90
	v_mul_u32_u24_e32 v58, 0x6c, v97
	v_sub_f32_e32 v78, v45, v54
	v_sub_f32_e32 v153, v44, v55
	;; [unrolled: 1-line block ×4, first 2 shown]
	v_add_lshl_u32 v178, v58, v98, 3
	ds_write2_b64 v178, v[70:71], v[74:75] offset1:18
	ds_write2_b64 v178, v[82:83], v[89:90] offset0:36 offset1:54
	ds_write2_b64 v178, v[91:92], v[93:94] offset0:72 offset1:90
	s_and_saveexec_b64 s[14:15], s[2:3]
	s_cbranch_execz .LBB0_15
; %bb.14:
	v_add_f32_e32 v58, v73, v86
	v_add_f32_e32 v59, v85, v87
	;; [unrolled: 1-line block ×11, first 2 shown]
	v_mad_legacy_u16 v44, v166, s16, v167
	v_sub_f32_e32 v53, v58, v59
	v_add_f32_e32 v59, v58, v59
	v_add_f32_e32 v45, v45, v54
	;; [unrolled: 1-line block ×3, first 2 shown]
	v_lshlrev_b32_e32 v44, 3, v44
	v_sub_f32_e32 v52, v60, v61
	ds_write2_b64 v44, v[58:59], v[45:46] offset1:18
	ds_write2_b64 v44, v[56:57], v[52:53] offset0:36 offset1:54
	ds_write2_b64 v44, v[78:79], v[153:154] offset0:72 offset1:90
.LBB0_15:
	s_or_b64 exec, exec, s[14:15]
	v_mov_b32_e32 v45, s5
	s_movk_i32 s14, 0x78
	v_mov_b32_e32 v44, s4
	v_mad_u64_u32 v[76:77], s[4:5], v165, s14, v[44:45]
	s_waitcnt lgkmcnt(0)
	s_barrier
	global_load_dwordx4 v[68:71], v[76:77], off offset:840
	global_load_dwordx4 v[60:63], v[76:77], off offset:856
	;; [unrolled: 1-line block ×7, first 2 shown]
	global_load_dwordx2 v[151:152], v[76:77], off offset:952
	ds_read2_b64 v[88:91], v161 offset1:108
	v_add_u32_e32 v85, 0x400, v161
	v_add_u32_e32 v82, 0xc00, v161
	;; [unrolled: 1-line block ×7, first 2 shown]
	ds_read2_b64 v[94:97], v85 offset0:88 offset1:196
	ds_read2_b64 v[98:101], v82 offset0:48 offset1:156
	;; [unrolled: 1-line block ×7, first 2 shown]
	s_add_u32 s4, s12, 0x3600
	s_addc_u32 s5, s13, 0
	s_movk_i32 s12, 0x1000
	s_waitcnt vmcnt(7) lgkmcnt(7)
	v_mul_f32_e32 v76, v91, v69
	s_waitcnt vmcnt(6) lgkmcnt(6)
	v_mul_f32_e32 v106, v97, v61
	v_mul_f32_e32 v107, v96, v61
	s_waitcnt lgkmcnt(5)
	v_mul_f32_e32 v160, v98, v63
	s_waitcnt vmcnt(4) lgkmcnt(4)
	v_mul_f32_e32 v195, v105, v45
	s_waitcnt lgkmcnt(3)
	v_mul_f32_e32 v197, v156, v47
	s_waitcnt vmcnt(2) lgkmcnt(1)
	v_mul_f32_e32 v206, v183, v67
	v_mul_f32_e32 v77, v90, v69
	;; [unrolled: 1-line block ×10, first 2 shown]
	v_fma_f32 v76, v90, v68, -v76
	v_fma_f32 v90, v96, v60, -v106
	v_fmac_f32_e32 v107, v97, v60
	v_fmac_f32_e32 v160, v99, v62
	v_fma_f32 v96, v104, v44, -v195
	v_fma_f32 v97, v155, v46, -v197
	v_fmac_f32_e32 v206, v184, v66
	s_waitcnt vmcnt(1) lgkmcnt(0)
	v_mul_f32_e32 v104, v187, v59
	v_mul_f32_e32 v81, v94, v71
	;; [unrolled: 1-line block ×8, first 2 shown]
	v_fmac_f32_e32 v77, v91, v68
	v_fma_f32 v80, v94, v70, -v80
	v_fma_f32 v91, v98, v62, -v159
	v_fmac_f32_e32 v192, v101, v52
	v_fmac_f32_e32 v194, v103, v54
	;; [unrolled: 1-line block ×3, first 2 shown]
	v_fma_f32 v99, v179, v74, -v201
	v_fma_f32 v101, v183, v66, -v205
	v_fmac_f32_e32 v104, v188, v58
	v_sub_f32_e32 v97, v88, v97
	v_sub_f32_e32 v156, v160, v206
	v_mul_f32_e32 v200, v157, v73
	v_mul_f32_e32 v203, v182, v65
	;; [unrolled: 1-line block ×3, first 2 shown]
	v_fmac_f32_e32 v81, v95, v70
	v_fma_f32 v95, v102, v54, -v193
	v_fma_f32 v98, v157, v72, -v199
	v_fmac_f32_e32 v202, v180, v74
	v_fmac_f32_e32 v208, v186, v56
	v_fma_f32 v103, v187, v58, -v209
	s_waitcnt vmcnt(0)
	v_mul_f32_e32 v106, v189, v152
	v_sub_f32_e32 v155, v89, v198
	v_sub_f32_e32 v101, v91, v101
	v_fma_f32 v157, v160, 2.0, -v156
	v_sub_f32_e32 v99, v80, v99
	v_sub_f32_e32 v104, v194, v104
	;; [unrolled: 1-line block ×3, first 2 shown]
	v_mul_f32_e32 v204, v181, v65
	v_fma_f32 v94, v100, v52, -v191
	v_fmac_f32_e32 v196, v105, v44
	v_fmac_f32_e32 v200, v158, v72
	v_fma_f32 v100, v181, v64, -v203
	v_fma_f32 v102, v185, v56, -v207
	v_mul_f32_e32 v105, v190, v152
	v_fmac_f32_e32 v106, v190, v151
	v_fma_f32 v88, v88, 2.0, -v97
	v_fma_f32 v91, v91, 2.0, -v101
	v_sub_f32_e32 v158, v81, v202
	v_sub_f32_e32 v103, v95, v103
	v_fma_f32 v159, v194, 2.0, -v104
	v_sub_f32_e32 v98, v76, v98
	v_sub_f32_e32 v179, v192, v208
	v_add_f32_e32 v101, v155, v101
	v_fma_f32 v97, v97, 2.0, -v156
	v_sub_f32_e32 v104, v99, v104
	v_fmac_f32_e32 v204, v182, v64
	v_fma_f32 v105, v189, v151, -v105
	v_fma_f32 v89, v89, 2.0, -v155
	v_fma_f32 v80, v80, 2.0, -v99
	;; [unrolled: 1-line block ×3, first 2 shown]
	v_sub_f32_e32 v160, v77, v200
	v_sub_f32_e32 v102, v94, v102
	v_fma_f32 v180, v192, 2.0, -v179
	v_sub_f32_e32 v100, v90, v100
	v_sub_f32_e32 v106, v196, v106
	v_fma_f32 v155, v155, 2.0, -v101
	v_add_f32_e32 v103, v158, v103
	v_fma_f32 v99, v99, 2.0, -v104
	v_sub_f32_e32 v179, v98, v179
	v_mov_b32_e32 v185, v97
	v_fma_f32 v81, v81, 2.0, -v158
	v_fma_f32 v76, v76, 2.0, -v98
	;; [unrolled: 1-line block ×3, first 2 shown]
	v_sub_f32_e32 v181, v107, v204
	v_sub_f32_e32 v105, v96, v105
	v_fma_f32 v182, v196, 2.0, -v106
	v_fma_f32 v158, v158, 2.0, -v103
	v_add_f32_e32 v102, v160, v102
	v_fma_f32 v98, v98, 2.0, -v179
	v_sub_f32_e32 v106, v100, v106
	v_fmac_f32_e32 v185, 0xbf3504f3, v99
	v_mov_b32_e32 v186, v155
	v_fma_f32 v77, v77, 2.0, -v160
	v_fma_f32 v90, v90, 2.0, -v100
	;; [unrolled: 1-line block ×3, first 2 shown]
	v_sub_f32_e32 v91, v88, v91
	v_sub_f32_e32 v159, v81, v159
	v_fma_f32 v160, v160, 2.0, -v102
	v_add_f32_e32 v105, v181, v105
	v_fma_f32 v100, v100, 2.0, -v106
	v_fmac_f32_e32 v186, 0xbf3504f3, v158
	v_fmac_f32_e32 v185, 0xbf3504f3, v158
	v_mov_b32_e32 v189, v156
	v_mov_b32_e32 v158, v98
	v_fma_f32 v107, v107, 2.0, -v181
	v_fma_f32 v81, v81, 2.0, -v159
	v_sub_f32_e32 v94, v76, v94
	v_sub_f32_e32 v96, v90, v96
	v_fma_f32 v181, v181, 2.0, -v105
	v_sub_f32_e32 v187, v91, v159
	v_fmac_f32_e32 v189, 0x3f3504f3, v104
	v_fmac_f32_e32 v158, 0xbf3504f3, v100
	v_mov_b32_e32 v159, v160
	v_sub_f32_e32 v157, v89, v157
	v_sub_f32_e32 v95, v80, v95
	v_fma_f32 v76, v76, 2.0, -v94
	v_fma_f32 v90, v90, 2.0, -v96
	;; [unrolled: 1-line block ×3, first 2 shown]
	v_mov_b32_e32 v190, v101
	v_fmac_f32_e32 v189, 0xbf3504f3, v103
	v_fmac_f32_e32 v159, 0xbf3504f3, v181
	;; [unrolled: 1-line block ×3, first 2 shown]
	v_fma_f32 v80, v80, 2.0, -v95
	v_sub_f32_e32 v182, v107, v182
	v_fmac_f32_e32 v186, 0x3f3504f3, v99
	v_add_f32_e32 v188, v157, v95
	v_fmac_f32_e32 v190, 0x3f3504f3, v103
	v_fma_f32 v103, v156, 2.0, -v189
	v_sub_f32_e32 v156, v76, v90
	v_fmac_f32_e32 v159, 0x3f3504f3, v100
	v_fma_f32 v95, v98, 2.0, -v158
	v_mov_b32_e32 v90, v97
	v_sub_f32_e32 v180, v77, v180
	v_fma_f32 v99, v155, 2.0, -v186
	v_fma_f32 v155, v91, 2.0, -v187
	;; [unrolled: 1-line block ×3, first 2 shown]
	v_sub_f32_e32 v181, v94, v182
	v_mov_b32_e32 v192, v102
	v_fmac_f32_e32 v90, 0xbf6c835e, v95
	v_fma_f32 v89, v89, 2.0, -v157
	v_fma_f32 v107, v107, 2.0, -v182
	;; [unrolled: 1-line block ×3, first 2 shown]
	v_fmac_f32_e32 v190, 0x3f3504f3, v104
	v_add_f32_e32 v182, v180, v96
	v_fma_f32 v100, v94, 2.0, -v181
	v_mov_b32_e32 v191, v179
	v_fmac_f32_e32 v192, 0x3f3504f3, v105
	v_fmac_f32_e32 v90, 0xbec3ef15, v98
	v_mov_b32_e32 v96, v155
	v_fma_f32 v104, v101, 2.0, -v190
	v_fma_f32 v101, v180, 2.0, -v182
	v_fmac_f32_e32 v191, 0x3f3504f3, v106
	v_fmac_f32_e32 v192, 0x3f3504f3, v106
	v_fma_f32 v94, v97, 2.0, -v90
	v_fmac_f32_e32 v96, 0xbf3504f3, v100
	v_mov_b32_e32 v97, v157
	v_fma_f32 v88, v88, 2.0, -v91
	v_fma_f32 v77, v77, 2.0, -v180
	v_fmac_f32_e32 v191, 0xbf3504f3, v105
	v_fma_f32 v102, v102, 2.0, -v192
	v_mov_b32_e32 v91, v99
	v_fmac_f32_e32 v97, 0xbf3504f3, v101
	v_fmac_f32_e32 v96, 0xbf3504f3, v101
	v_mov_b32_e32 v101, v104
	v_sub_f32_e32 v183, v88, v80
	v_sub_f32_e32 v184, v89, v81
	;; [unrolled: 1-line block ×3, first 2 shown]
	v_fma_f32 v105, v179, 2.0, -v191
	v_fmac_f32_e32 v91, 0xbf6c835e, v98
	v_fmac_f32_e32 v97, 0x3f3504f3, v100
	v_fma_f32 v98, v155, 2.0, -v96
	v_mov_b32_e32 v100, v103
	v_fmac_f32_e32 v101, 0xbec3ef15, v102
	v_mov_b32_e32 v155, v185
	v_fma_f32 v88, v88, 2.0, -v183
	v_fma_f32 v89, v89, 2.0, -v184
	;; [unrolled: 1-line block ×4, first 2 shown]
	v_fmac_f32_e32 v100, 0xbec3ef15, v105
	v_fmac_f32_e32 v101, 0x3f6c835e, v105
	v_add_f32_e32 v105, v184, v156
	v_fmac_f32_e32 v155, 0x3ec3ef15, v158
	v_mov_b32_e32 v156, v186
	v_sub_f32_e32 v80, v88, v76
	v_sub_f32_e32 v81, v89, v77
	v_fmac_f32_e32 v156, 0x3ec3ef15, v159
	v_fmac_f32_e32 v155, 0xbf6c835e, v159
	v_mov_b32_e32 v159, v187
	v_mov_b32_e32 v160, v188
	;; [unrolled: 1-line block ×4, first 2 shown]
	v_fmac_f32_e32 v91, 0x3ec3ef15, v95
	v_fmac_f32_e32 v100, 0xbf6c835e, v102
	;; [unrolled: 1-line block ×6, first 2 shown]
	v_fma_f32 v88, v88, 2.0, -v80
	v_fma_f32 v89, v89, 2.0, -v81
	;; [unrolled: 1-line block ×5, first 2 shown]
	v_sub_f32_e32 v104, v183, v107
	v_fmac_f32_e32 v156, 0x3f6c835e, v158
	v_fmac_f32_e32 v159, 0xbf3504f3, v182
	;; [unrolled: 1-line block ×5, first 2 shown]
	v_fma_f32 v99, v157, 2.0, -v97
	v_fma_f32 v106, v183, 2.0, -v104
	;; [unrolled: 1-line block ×9, first 2 shown]
	ds_write2_b64 v161, v[88:89], v[94:95] offset1:108
	ds_write2_b64 v85, v[98:99], v[102:103] offset0:88 offset1:196
	ds_write2_b64 v82, v[106:107], v[157:158] offset0:48 offset1:156
	;; [unrolled: 1-line block ×7, first 2 shown]
	v_lshlrev_b32_e32 v96, 3, v165
	s_waitcnt lgkmcnt(0)
	s_barrier
	global_load_dwordx2 v[90:91], v96, s[4:5]
	v_mov_b32_e32 v80, s5
	v_add_co_u32_e32 v89, vcc, s4, v96
	v_addc_co_u32_e32 v88, vcc, 0, v80, vcc
	v_add_co_u32_e32 v94, vcc, s12, v89
	v_addc_co_u32_e32 v95, vcc, 0, v88, vcc
	global_load_dwordx2 v[106:107], v[94:95], off offset:512
	global_load_dwordx2 v[155:156], v96, s[4:5] offset:864
	global_load_dwordx2 v[157:158], v96, s[4:5] offset:1728
	global_load_dwordx2 v[159:160], v84, s[4:5]
	global_load_dwordx2 v[179:180], v[94:95], off offset:1376
	s_movk_i32 s12, 0x2000
	v_add_co_u32_e32 v80, vcc, s12, v89
	v_addc_co_u32_e32 v81, vcc, 0, v88, vcc
	global_load_dwordx2 v[181:182], v[80:81], off offset:1888
	global_load_dwordx2 v[183:184], v[94:95], off offset:2240
	;; [unrolled: 1-line block ×3, first 2 shown]
	global_load_dwordx2 v[187:188], v96, s[4:5] offset:2592
	global_load_dwordx2 v[189:190], v[94:95], off offset:3104
	global_load_dwordx2 v[191:192], v[80:81], off offset:3616
	global_load_dwordx2 v[193:194], v96, s[4:5] offset:3456
	global_load_dwordx2 v[195:196], v[94:95], off offset:3968
	v_add_co_u32_e32 v98, vcc, 0x3000, v89
	v_addc_co_u32_e32 v99, vcc, 0, v88, vcc
	global_load_dwordx2 v[197:198], v[98:99], off offset:384
	ds_read2_b64 v[94:97], v161 offset1:108
	s_waitcnt vmcnt(14) lgkmcnt(0)
	v_mul_f32_e32 v84, v95, v91
	v_mul_f32_e32 v99, v94, v91
	v_fma_f32 v98, v94, v90, -v84
	v_fmac_f32_e32 v99, v95, v90
	ds_write_b64 v161, v[98:99]
	ds_read2_b64 v[98:101], v82 offset0:48 offset1:192
	ds_read2_b64 v[102:105], v86 offset0:128 offset1:236
	s_waitcnt vmcnt(12)
	v_mul_f32_e32 v94, v97, v156
	s_waitcnt lgkmcnt(1)
	v_mul_f32_e32 v84, v101, v107
	v_fma_f32 v90, v100, v106, -v84
	s_waitcnt vmcnt(10) lgkmcnt(0)
	v_mul_f32_e32 v84, v103, v160
	v_mul_f32_e32 v91, v100, v107
	v_fma_f32 v199, v102, v159, -v84
	v_mul_f32_e32 v200, v102, v160
	v_add_u32_e32 v84, 0x1400, v161
	v_fmac_f32_e32 v91, v101, v106
	v_fmac_f32_e32 v200, v103, v159
	ds_read2_b64 v[100:103], v84 offset0:44 offset1:152
	v_fma_f32 v106, v96, v155, -v94
	v_mul_f32_e32 v107, v96, v156
	v_fmac_f32_e32 v107, v97, v155
	s_waitcnt vmcnt(9) lgkmcnt(0)
	v_mul_f32_e32 v94, v101, v180
	v_mul_f32_e32 v95, v100, v180
	v_fma_f32 v94, v100, v179, -v94
	v_fmac_f32_e32 v95, v101, v179
	ds_write2_b64 v87, v[90:91], v[94:95] offset0:64 offset1:172
	ds_read2_b64 v[94:97], v85 offset0:88 offset1:196
	s_waitcnt vmcnt(8)
	v_mul_f32_e32 v87, v105, v182
	v_fma_f32 v90, v104, v181, -v87
	v_mul_f32_e32 v91, v104, v182
	v_fmac_f32_e32 v91, v105, v181
	s_waitcnt lgkmcnt(0)
	v_mul_f32_e32 v87, v95, v158
	v_mul_f32_e32 v101, v94, v158
	v_fma_f32 v100, v94, v157, -v87
	v_fmac_f32_e32 v101, v95, v157
	ds_write2_b64 v161, v[106:107], v[100:101] offset0:108 offset1:216
	ds_read2_b64 v[104:107], v93 offset0:88 offset1:196
	s_waitcnt vmcnt(7)
	v_mul_f32_e32 v87, v103, v184
	v_fma_f32 v94, v102, v183, -v87
	v_mul_f32_e32 v95, v102, v184
	v_fmac_f32_e32 v95, v103, v183
	s_waitcnt vmcnt(6) lgkmcnt(0)
	v_mul_f32_e32 v87, v105, v186
	v_mul_f32_e32 v101, v104, v186
	v_fma_f32 v100, v104, v185, -v87
	v_fmac_f32_e32 v101, v105, v185
	v_add_u32_e32 v87, 0x2400, v161
	ds_write2_b64 v87, v[90:91], v[100:101] offset0:108 offset1:216
	ds_read2_b64 v[100:103], v92 offset0:132 offset1:240
	s_waitcnt vmcnt(5)
	v_mul_f32_e32 v87, v97, v188
	v_mul_f32_e32 v91, v96, v188
	v_fma_f32 v90, v96, v187, -v87
	v_fmac_f32_e32 v91, v97, v187
	s_waitcnt vmcnt(4) lgkmcnt(0)
	v_mul_f32_e32 v87, v101, v190
	v_mul_f32_e32 v97, v100, v190
	v_fma_f32 v96, v100, v189, -v87
	v_fmac_f32_e32 v97, v101, v189
	s_waitcnt vmcnt(3)
	v_mul_f32_e32 v87, v107, v192
	ds_write2_b64 v92, v[94:95], v[96:97] offset0:24 offset1:132
	v_fma_f32 v94, v106, v191, -v87
	s_waitcnt vmcnt(2)
	v_mul_f32_e32 v87, v99, v194
	v_mul_f32_e32 v97, v98, v194
	v_fma_f32 v96, v98, v193, -v87
	v_fmac_f32_e32 v97, v99, v193
	v_add_u32_e32 v87, 0x800, v161
	ds_write2_b64 v87, v[90:91], v[96:97] offset0:68 offset1:176
	ds_read_b64 v[96:97], v161 offset:12672
	s_waitcnt vmcnt(1)
	v_mul_f32_e32 v87, v103, v196
	v_mul_f32_e32 v91, v102, v196
	v_fma_f32 v90, v102, v195, -v87
	v_fmac_f32_e32 v91, v103, v195
	v_add_u32_e32 v87, 0x1e00, v161
	v_mul_f32_e32 v95, v106, v192
	ds_write2_b64 v87, v[90:91], v[199:200] offset0:48 offset1:192
	s_waitcnt vmcnt(0) lgkmcnt(1)
	v_mul_f32_e32 v87, v97, v198
	v_mul_f32_e32 v91, v96, v198
	v_fmac_f32_e32 v95, v107, v191
	v_fma_f32 v90, v96, v197, -v87
	v_fmac_f32_e32 v91, v97, v197
	ds_write2_b64 v83, v[94:95], v[90:91] offset0:68 offset1:176
	s_and_saveexec_b64 s[4:5], s[0:1]
	s_cbranch_execz .LBB0_17
; %bb.16:
	v_add_co_u32_e32 v90, vcc, 0x1000, v89
	v_addc_co_u32_e32 v91, vcc, 0, v88, vcc
	v_add_co_u32_e32 v87, vcc, 0x3000, v89
	global_load_dwordx2 v[94:95], v[90:91], off offset:224
	v_addc_co_u32_e32 v88, vcc, 0, v88, vcc
	global_load_dwordx2 v[96:97], v[87:88], off offset:1248
	s_nop 0
	global_load_dwordx2 v[80:81], v[80:81], off offset:736
	v_add_u32_e32 v83, 0xe0, v161
	ds_read2st64_b64 v[87:90], v83 offset0:8 offset1:17
	ds_read_b64 v[98:99], v161 offset:13536
	s_waitcnt vmcnt(2) lgkmcnt(1)
	v_mul_f32_e32 v91, v88, v95
	v_mul_f32_e32 v101, v87, v95
	v_fma_f32 v100, v87, v94, -v91
	v_fmac_f32_e32 v101, v88, v94
	s_waitcnt vmcnt(0)
	v_mul_f32_e32 v87, v90, v81
	v_mul_f32_e32 v88, v89, v81
	s_waitcnt lgkmcnt(0)
	v_mul_f32_e32 v91, v99, v97
	v_mul_f32_e32 v81, v98, v97
	v_fma_f32 v87, v89, v80, -v87
	v_fmac_f32_e32 v88, v90, v80
	v_fma_f32 v80, v98, v96, -v91
	v_fmac_f32_e32 v81, v99, v96
	ds_write2st64_b64 v83, v[100:101], v[87:88] offset0:8 offset1:17
	ds_write_b64 v161, v[80:81] offset:13536
.LBB0_17:
	s_or_b64 exec, exec, s[4:5]
	s_waitcnt lgkmcnt(0)
	s_barrier
	ds_read2_b64 v[88:91], v161 offset1:108
	ds_read2_b64 v[80:83], v82 offset0:48 offset1:192
	ds_read2_b64 v[104:107], v86 offset0:128 offset1:236
	;; [unrolled: 1-line block ×6, first 2 shown]
	ds_read_b64 v[156:157], v161 offset:12672
	s_and_saveexec_b64 s[4:5], s[0:1]
	s_cbranch_execz .LBB0_19
; %bb.18:
	v_add_u32_e32 v76, 0xe0, v161
	ds_read2st64_b64 v[76:79], v76 offset0:8 offset1:17
	ds_read_b64 v[153:154], v161 offset:13536
.LBB0_19:
	s_or_b64 exec, exec, s[4:5]
	s_waitcnt lgkmcnt(6)
	v_add_f32_e32 v155, v88, v82
	s_waitcnt lgkmcnt(5)
	v_add_f32_e32 v179, v155, v104
	v_add_f32_e32 v155, v82, v104
	v_fma_f32 v88, -0.5, v155, v88
	v_sub_f32_e32 v155, v83, v105
	v_mov_b32_e32 v181, v88
	v_fmac_f32_e32 v181, 0xbf5db3d7, v155
	v_fmac_f32_e32 v88, 0x3f5db3d7, v155
	v_add_f32_e32 v155, v89, v83
	v_add_f32_e32 v83, v83, v105
	v_fma_f32 v89, -0.5, v83, v89
	v_sub_f32_e32 v82, v82, v104
	v_mov_b32_e32 v182, v89
	s_waitcnt lgkmcnt(4)
	v_add_f32_e32 v83, v100, v106
	v_fmac_f32_e32 v182, 0x3f5db3d7, v82
	v_fmac_f32_e32 v89, 0xbf5db3d7, v82
	v_add_f32_e32 v82, v90, v100
	v_fma_f32 v90, -0.5, v83, v90
	v_sub_f32_e32 v83, v101, v107
	v_mov_b32_e32 v104, v90
	v_fmac_f32_e32 v104, 0xbf5db3d7, v83
	v_fmac_f32_e32 v90, 0x3f5db3d7, v83
	v_add_f32_e32 v83, v91, v101
	v_add_f32_e32 v101, v101, v107
	v_fmac_f32_e32 v91, -0.5, v101
	v_add_f32_e32 v180, v155, v105
	v_sub_f32_e32 v100, v100, v106
	v_mov_b32_e32 v105, v91
	s_waitcnt lgkmcnt(2)
	v_add_f32_e32 v101, v102, v96
	v_fmac_f32_e32 v105, 0x3f5db3d7, v100
	v_fmac_f32_e32 v91, 0xbf5db3d7, v100
	v_add_f32_e32 v100, v84, v102
	v_fma_f32 v84, -0.5, v101, v84
	v_sub_f32_e32 v101, v103, v97
	v_mov_b32_e32 v183, v84
	v_fmac_f32_e32 v183, 0xbf5db3d7, v101
	v_fmac_f32_e32 v84, 0x3f5db3d7, v101
	v_add_f32_e32 v101, v85, v103
	v_add_f32_e32 v101, v101, v97
	;; [unrolled: 1-line block ×3, first 2 shown]
	v_fma_f32 v85, -0.5, v97, v85
	v_add_f32_e32 v100, v100, v96
	v_sub_f32_e32 v96, v102, v96
	v_mov_b32_e32 v184, v85
	s_waitcnt lgkmcnt(1)
	v_add_f32_e32 v97, v92, v98
	v_fmac_f32_e32 v184, 0x3f5db3d7, v96
	v_fmac_f32_e32 v85, 0xbf5db3d7, v96
	v_add_f32_e32 v96, v86, v92
	v_fma_f32 v86, -0.5, v97, v86
	v_sub_f32_e32 v97, v93, v99
	v_mov_b32_e32 v102, v86
	v_fmac_f32_e32 v102, 0xbf5db3d7, v97
	v_fmac_f32_e32 v86, 0x3f5db3d7, v97
	v_add_f32_e32 v97, v87, v93
	v_add_f32_e32 v93, v93, v99
	v_fmac_f32_e32 v87, -0.5, v93
	v_sub_f32_e32 v92, v92, v98
	v_mov_b32_e32 v103, v87
	v_fmac_f32_e32 v103, 0x3f5db3d7, v92
	v_fmac_f32_e32 v87, 0xbf5db3d7, v92
	v_add_f32_e32 v92, v80, v94
	v_add_f32_e32 v82, v82, v106
	s_waitcnt lgkmcnt(0)
	v_add_f32_e32 v106, v92, v156
	v_add_f32_e32 v92, v94, v156
	v_fma_f32 v80, -0.5, v92, v80
	v_sub_f32_e32 v92, v95, v157
	v_mov_b32_e32 v155, v80
	v_fmac_f32_e32 v155, 0xbf5db3d7, v92
	v_fmac_f32_e32 v80, 0x3f5db3d7, v92
	v_add_f32_e32 v92, v81, v95
	v_add_f32_e32 v83, v83, v107
	;; [unrolled: 1-line block ×4, first 2 shown]
	v_fmac_f32_e32 v81, -0.5, v92
	v_sub_f32_e32 v92, v94, v156
	v_mov_b32_e32 v156, v81
	v_fmac_f32_e32 v156, 0x3f5db3d7, v92
	v_fmac_f32_e32 v81, 0xbf5db3d7, v92
	v_add_f32_e32 v92, v76, v78
	v_add_f32_e32 v157, v92, v153
	;; [unrolled: 1-line block ×3, first 2 shown]
	v_fmac_f32_e32 v76, -0.5, v92
	v_sub_f32_e32 v92, v79, v154
	v_mov_b32_e32 v159, v76
	v_fmac_f32_e32 v159, 0xbf5db3d7, v92
	v_fmac_f32_e32 v76, 0x3f5db3d7, v92
	v_add_f32_e32 v92, v77, v79
	v_add_f32_e32 v79, v79, v154
	v_fmac_f32_e32 v77, -0.5, v79
	v_sub_f32_e32 v78, v78, v153
	v_mov_b32_e32 v160, v77
	v_add_f32_e32 v158, v92, v154
	v_fmac_f32_e32 v160, 0x3f5db3d7, v78
	v_fmac_f32_e32 v77, 0xbf5db3d7, v78
	v_add_f32_e32 v96, v96, v98
	v_add_f32_e32 v97, v97, v99
	s_barrier
	ds_write2_b64 v168, v[179:180], v[181:182] offset1:1
	ds_write_b64 v168, v[88:89] offset:16
	ds_write2_b64 v169, v[82:83], v[104:105] offset1:1
	ds_write_b64 v169, v[90:91] offset:16
	;; [unrolled: 2-line block ×5, first 2 shown]
	s_and_saveexec_b64 s[4:5], s[0:1]
	s_cbranch_execz .LBB0_21
; %bb.20:
	v_lshlrev_b32_e32 v78, 3, v173
	ds_write2_b64 v78, v[157:158], v[159:160] offset1:1
	ds_write_b64 v78, v[76:77] offset:16
.LBB0_21:
	s_or_b64 exec, exec, s[4:5]
	v_add_u32_e32 v78, 0x800, v161
	s_waitcnt lgkmcnt(0)
	s_barrier
	ds_read2_b64 v[102:105], v78 offset0:32 offset1:140
	v_add_u32_e32 v78, 0x1000, v161
	ds_read2_b64 v[98:101], v78 offset0:64 offset1:172
	v_add_u32_e32 v78, 0x1800, v161
	;; [unrolled: 2-line block ×4, first 2 shown]
	ds_read2_b64 v[82:85], v161 offset1:108
	ds_read2_b64 v[86:89], v78 offset0:32 offset1:140
	s_and_saveexec_b64 s[4:5], s[2:3]
	s_cbranch_execz .LBB0_23
; %bb.22:
	ds_read_b64 v[106:107], v161 offset:1728
	ds_read_b64 v[155:156], v161 offset:4032
	;; [unrolled: 1-line block ×6, first 2 shown]
.LBB0_23:
	s_or_b64 exec, exec, s[4:5]
	s_waitcnt lgkmcnt(5)
	v_mul_f32_e32 v78, v9, v103
	v_mul_f32_e32 v9, v9, v102
	v_fmac_f32_e32 v78, v8, v102
	v_fma_f32 v8, v8, v103, -v9
	s_waitcnt lgkmcnt(4)
	v_mul_f32_e32 v9, v11, v99
	v_mul_f32_e32 v11, v11, v98
	v_fmac_f32_e32 v9, v10, v98
	v_fma_f32 v10, v10, v99, -v11
	;; [unrolled: 5-line block ×4, first 2 shown]
	s_waitcnt lgkmcnt(0)
	v_mul_f32_e32 v3, v140, v87
	v_fmac_f32_e32 v3, v139, v86
	v_mul_f32_e32 v79, v140, v86
	v_mul_f32_e32 v86, v13, v105
	;; [unrolled: 1-line block ×3, first 2 shown]
	v_fma_f32 v79, v139, v87, -v79
	v_fmac_f32_e32 v86, v12, v104
	v_fma_f32 v87, v12, v105, -v13
	v_mul_f32_e32 v12, v15, v101
	v_mul_f32_e32 v13, v15, v100
	v_fmac_f32_e32 v12, v14, v100
	v_fma_f32 v13, v14, v101, -v13
	v_mul_f32_e32 v14, v5, v97
	v_mul_f32_e32 v5, v5, v96
	;; [unrolled: 4-line block ×4, first 2 shown]
	v_fmac_f32_e32 v92, v141, v88
	v_fma_f32 v88, v141, v89, -v4
	v_mul_f32_e32 v4, v29, v155
	v_fma_f32 v93, v28, v156, -v4
	v_mul_f32_e32 v94, v31, v81
	v_mul_f32_e32 v4, v31, v80
	v_fmac_f32_e32 v94, v30, v80
	v_fma_f32 v80, v30, v81, -v4
	v_mul_f32_e32 v4, v25, v157
	v_fma_f32 v95, v24, v158, -v4
	v_mul_f32_e32 v4, v27, v159
	v_fma_f32 v97, v26, v160, -v4
	v_mul_f32_e32 v98, v146, v77
	v_mul_f32_e32 v4, v146, v76
	v_fmac_f32_e32 v98, v145, v76
	v_fma_f32 v76, v145, v77, -v4
	v_add_f32_e32 v4, v82, v9
	v_add_f32_e32 v6, v4, v1
	;; [unrolled: 1-line block ×3, first 2 shown]
	v_mul_f32_e32 v81, v25, v158
	v_fma_f32 v7, -0.5, v4, v82
	v_fmac_f32_e32 v81, v24, v157
	v_sub_f32_e32 v4, v10, v2
	v_mov_b32_e32 v24, v7
	v_fmac_f32_e32 v24, 0xbf5db3d7, v4
	v_fmac_f32_e32 v7, 0x3f5db3d7, v4
	v_add_f32_e32 v4, v83, v10
	v_mul_f32_e32 v96, v27, v160
	v_add_f32_e32 v25, v4, v2
	v_add_f32_e32 v2, v10, v2
	v_fmac_f32_e32 v96, v26, v159
	v_fma_f32 v26, -0.5, v2, v83
	v_sub_f32_e32 v1, v9, v1
	v_mov_b32_e32 v9, v26
	v_fmac_f32_e32 v9, 0x3f5db3d7, v1
	v_fmac_f32_e32 v26, 0xbf5db3d7, v1
	v_add_f32_e32 v1, v78, v11
	v_add_f32_e32 v10, v1, v3
	v_add_f32_e32 v1, v11, v3
	v_fmac_f32_e32 v78, -0.5, v1
	v_sub_f32_e32 v1, v0, v79
	v_mov_b32_e32 v5, v78
	v_fmac_f32_e32 v5, 0xbf5db3d7, v1
	v_fmac_f32_e32 v78, 0x3f5db3d7, v1
	v_add_f32_e32 v1, v8, v0
	v_add_f32_e32 v0, v0, v79
	v_fmac_f32_e32 v8, -0.5, v0
	v_sub_f32_e32 v0, v11, v3
	v_mov_b32_e32 v3, v8
	v_fmac_f32_e32 v3, 0x3f5db3d7, v0
	v_fmac_f32_e32 v8, 0xbf5db3d7, v0
	v_mul_f32_e32 v11, 0xbf5db3d7, v3
	v_mul_f32_e32 v89, v29, v156
	v_fmac_f32_e32 v11, 0.5, v5
	v_mul_f32_e32 v30, -0.5, v8
	v_fmac_f32_e32 v89, v28, v155
	v_add_f32_e32 v2, v24, v11
	v_mul_f32_e32 v28, 0xbf5db3d7, v8
	v_mul_f32_e32 v29, 0.5, v3
	v_fmac_f32_e32 v30, 0x3f5db3d7, v78
	v_sub_f32_e32 v8, v24, v11
	v_add_f32_e32 v24, v84, v12
	v_add_f32_e32 v27, v1, v79
	v_fmac_f32_e32 v28, -0.5, v78
	v_fmac_f32_e32 v29, 0x3f5db3d7, v5
	v_add_f32_e32 v5, v26, v30
	v_sub_f32_e32 v11, v26, v30
	v_add_f32_e32 v26, v24, v90
	v_add_f32_e32 v24, v12, v90
	;; [unrolled: 1-line block ×5, first 2 shown]
	v_sub_f32_e32 v6, v6, v10
	v_sub_f32_e32 v10, v7, v28
	;; [unrolled: 1-line block ×3, first 2 shown]
	v_fma_f32 v27, -0.5, v24, v84
	v_sub_f32_e32 v24, v13, v91
	v_mov_b32_e32 v28, v27
	v_fmac_f32_e32 v28, 0xbf5db3d7, v24
	v_fmac_f32_e32 v27, 0x3f5db3d7, v24
	v_add_f32_e32 v24, v85, v13
	v_add_f32_e32 v13, v13, v91
	v_fmac_f32_e32 v85, -0.5, v13
	v_sub_f32_e32 v12, v12, v90
	v_mov_b32_e32 v31, v85
	v_fmac_f32_e32 v31, 0x3f5db3d7, v12
	v_fmac_f32_e32 v85, 0xbf5db3d7, v12
	v_add_f32_e32 v12, v86, v14
	v_add_f32_e32 v30, v12, v92
	v_add_f32_e32 v12, v14, v92
	v_fmac_f32_e32 v86, -0.5, v12
	v_sub_f32_e32 v12, v15, v88
	v_mov_b32_e32 v25, v86
	v_fmac_f32_e32 v25, 0xbf5db3d7, v12
	v_fmac_f32_e32 v86, 0x3f5db3d7, v12
	v_add_f32_e32 v12, v87, v15
	v_add_f32_e32 v77, v12, v88
	;; [unrolled: 1-line block ×3, first 2 shown]
	v_fmac_f32_e32 v87, -0.5, v12
	v_sub_f32_e32 v12, v14, v92
	v_mov_b32_e32 v15, v87
	v_fmac_f32_e32 v87, 0xbf5db3d7, v12
	v_fmac_f32_e32 v15, 0x3f5db3d7, v12
	v_mul_f32_e32 v79, 0xbf5db3d7, v87
	v_add_f32_e32 v3, v9, v29
	v_sub_f32_e32 v9, v9, v29
	v_add_f32_e32 v29, v24, v91
	v_fmac_f32_e32 v79, -0.5, v86
	v_mul_f32_e32 v82, 0.5, v15
	v_add_f32_e32 v12, v26, v30
	v_add_f32_e32 v24, v27, v79
	;; [unrolled: 1-line block ×3, first 2 shown]
	v_fmac_f32_e32 v82, 0x3f5db3d7, v25
	v_sub_f32_e32 v26, v26, v30
	v_sub_f32_e32 v30, v27, v79
	;; [unrolled: 1-line block ×3, first 2 shown]
	v_add_f32_e32 v77, v94, v106
	v_mul_f32_e32 v78, 0xbf5db3d7, v15
	v_add_f32_e32 v15, v31, v82
	v_mul_f32_e32 v83, -0.5, v87
	v_sub_f32_e32 v29, v31, v82
	v_add_f32_e32 v82, v96, v77
	v_add_f32_e32 v77, v96, v94
	v_fmac_f32_e32 v83, 0x3f5db3d7, v86
	v_fmac_f32_e32 v106, -0.5, v77
	v_fmac_f32_e32 v78, 0.5, v25
	v_add_f32_e32 v25, v85, v83
	v_sub_f32_e32 v31, v85, v83
	v_sub_f32_e32 v77, v80, v97
	v_mov_b32_e32 v83, v106
	v_fmac_f32_e32 v83, 0xbf5db3d7, v77
	v_fmac_f32_e32 v106, 0x3f5db3d7, v77
	v_add_f32_e32 v77, v80, v107
	v_add_f32_e32 v87, v97, v77
	v_add_f32_e32 v77, v97, v80
	v_fmac_f32_e32 v107, -0.5, v77
	v_sub_f32_e32 v77, v94, v96
	v_mov_b32_e32 v88, v107
	v_fmac_f32_e32 v88, 0x3f5db3d7, v77
	v_fmac_f32_e32 v107, 0xbf5db3d7, v77
	v_add_f32_e32 v77, v81, v89
	v_add_f32_e32 v80, v98, v77
	v_add_f32_e32 v77, v81, v98
	v_fmac_f32_e32 v89, -0.5, v77
	;; [unrolled: 8-line block ×3, first 2 shown]
	v_sub_f32_e32 v76, v81, v98
	v_mov_b32_e32 v81, v93
	v_fmac_f32_e32 v81, 0x3f5db3d7, v76
	v_fmac_f32_e32 v93, 0xbf5db3d7, v76
	v_mul_f32_e32 v86, 0xbf5db3d7, v81
	v_mul_f32_e32 v91, 0xbf5db3d7, v93
	v_mul_f32_e32 v92, 0.5, v81
	v_mul_f32_e32 v93, -0.5, v93
	v_fmac_f32_e32 v86, 0.5, v79
	v_fmac_f32_e32 v91, -0.5, v89
	v_fmac_f32_e32 v92, 0x3f5db3d7, v79
	v_fmac_f32_e32 v93, 0x3f5db3d7, v89
	v_add_f32_e32 v14, v28, v78
	v_sub_f32_e32 v28, v28, v78
	v_add_f32_e32 v76, v82, v80
	v_add_f32_e32 v78, v83, v86
	;; [unrolled: 1-line block ×6, first 2 shown]
	v_sub_f32_e32 v80, v82, v80
	v_sub_f32_e32 v86, v83, v86
	;; [unrolled: 1-line block ×6, first 2 shown]
	s_barrier
	ds_write2_b64 v174, v[0:1], v[2:3] offset1:3
	ds_write2_b64 v174, v[4:5], v[6:7] offset0:6 offset1:9
	ds_write2_b64 v174, v[8:9], v[10:11] offset0:12 offset1:15
	ds_write2_b64 v175, v[12:13], v[14:15] offset1:3
	ds_write2_b64 v175, v[24:25], v[26:27] offset0:6 offset1:9
	ds_write2_b64 v175, v[28:29], v[30:31] offset0:12 offset1:15
	s_and_saveexec_b64 s[4:5], s[2:3]
	s_cbranch_execz .LBB0_25
; %bb.24:
	v_lshlrev_b32_e32 v0, 3, v176
	ds_write2_b64 v0, v[76:77], v[78:79] offset1:3
	ds_write2_b64 v0, v[84:85], v[80:81] offset0:6 offset1:9
	ds_write2_b64 v0, v[86:87], v[82:83] offset0:12 offset1:15
.LBB0_25:
	s_or_b64 exec, exec, s[4:5]
	v_add_u32_e32 v4, 0x800, v161
	s_waitcnt lgkmcnt(0)
	s_barrier
	ds_read2_b64 v[28:31], v4 offset0:32 offset1:140
	v_add_u32_e32 v4, 0x1000, v161
	ds_read2_b64 v[24:27], v4 offset0:64 offset1:172
	v_add_u32_e32 v4, 0x1800, v161
	;; [unrolled: 2-line block ×4, first 2 shown]
	ds_read2_b64 v[0:3], v161 offset1:108
	ds_read2_b64 v[4:7], v4 offset0:32 offset1:140
	s_and_saveexec_b64 s[4:5], s[2:3]
	s_cbranch_execz .LBB0_27
; %bb.26:
	ds_read_b64 v[76:77], v161 offset:1728
	ds_read_b64 v[78:79], v161 offset:4032
	;; [unrolled: 1-line block ×6, first 2 shown]
.LBB0_27:
	s_or_b64 exec, exec, s[4:5]
	s_waitcnt lgkmcnt(5)
	v_mul_f32_e32 v88, v49, v29
	v_fmac_f32_e32 v88, v48, v28
	v_mul_f32_e32 v28, v49, v28
	v_fma_f32 v28, v48, v29, -v28
	s_waitcnt lgkmcnt(4)
	v_mul_f32_e32 v29, v51, v25
	v_fmac_f32_e32 v29, v50, v24
	v_mul_f32_e32 v24, v51, v24
	v_fma_f32 v24, v50, v25, -v24
	s_waitcnt lgkmcnt(3)
	v_mul_f32_e32 v25, v41, v13
	v_fmac_f32_e32 v25, v40, v12
	v_mul_f32_e32 v12, v41, v12
	v_fma_f32 v12, v40, v13, -v12
	s_waitcnt lgkmcnt(2)
	v_mul_f32_e32 v13, v43, v9
	v_fmac_f32_e32 v13, v42, v8
	v_mul_f32_e32 v8, v43, v8
	v_fma_f32 v8, v42, v9, -v8
	s_waitcnt lgkmcnt(0)
	v_mul_f32_e32 v9, v150, v5
	v_fmac_f32_e32 v9, v149, v4
	v_mul_f32_e32 v4, v150, v4
	v_fma_f32 v4, v149, v5, -v4
	v_mul_f32_e32 v40, v37, v31
	v_mul_f32_e32 v5, v37, v30
	v_fmac_f32_e32 v40, v36, v30
	v_fma_f32 v30, v36, v31, -v5
	v_mul_f32_e32 v31, v39, v27
	v_mul_f32_e32 v5, v39, v26
	v_fmac_f32_e32 v31, v38, v26
	v_fma_f32 v26, v38, v27, -v5
	;; [unrolled: 4-line block ×3, first 2 shown]
	v_mul_f32_e32 v5, v35, v10
	v_mul_f32_e32 v15, v35, v11
	v_fma_f32 v32, v34, v11, -v5
	v_mul_f32_e32 v5, v148, v6
	v_fmac_f32_e32 v15, v34, v10
	v_fma_f32 v34, v147, v7, -v5
	v_add_f32_e32 v5, v0, v29
	v_add_f32_e32 v10, v5, v13
	;; [unrolled: 1-line block ×3, first 2 shown]
	v_fma_f32 v11, -0.5, v5, v0
	v_sub_f32_e32 v0, v24, v8
	v_mov_b32_e32 v35, v11
	v_fmac_f32_e32 v35, 0xbf5db3d7, v0
	v_fmac_f32_e32 v11, 0x3f5db3d7, v0
	v_add_f32_e32 v0, v1, v24
	v_add_f32_e32 v36, v0, v8
	;; [unrolled: 1-line block ×3, first 2 shown]
	v_fma_f32 v24, -0.5, v0, v1
	v_sub_f32_e32 v0, v29, v13
	v_mov_b32_e32 v13, v24
	v_fmac_f32_e32 v13, 0x3f5db3d7, v0
	v_fmac_f32_e32 v24, 0xbf5db3d7, v0
	v_add_f32_e32 v0, v88, v25
	v_add_f32_e32 v8, v0, v9
	;; [unrolled: 1-line block ×3, first 2 shown]
	v_fmac_f32_e32 v88, -0.5, v0
	v_sub_f32_e32 v0, v12, v4
	v_mov_b32_e32 v5, v88
	v_fmac_f32_e32 v5, 0xbf5db3d7, v0
	v_fmac_f32_e32 v88, 0x3f5db3d7, v0
	v_add_f32_e32 v0, v28, v12
	v_add_f32_e32 v29, v0, v4
	;; [unrolled: 1-line block ×3, first 2 shown]
	v_fmac_f32_e32 v28, -0.5, v0
	v_mul_f32_e32 v33, v148, v7
	v_sub_f32_e32 v0, v25, v9
	v_mov_b32_e32 v7, v28
	v_fmac_f32_e32 v7, 0x3f5db3d7, v0
	v_fmac_f32_e32 v28, 0xbf5db3d7, v0
	v_mul_f32_e32 v12, 0xbf5db3d7, v28
	v_mul_f32_e32 v25, 0.5, v7
	v_mul_f32_e32 v28, -0.5, v28
	v_mul_f32_e32 v9, 0xbf5db3d7, v7
	v_fmac_f32_e32 v12, -0.5, v88
	v_fmac_f32_e32 v25, 0x3f5db3d7, v5
	v_fmac_f32_e32 v28, 0x3f5db3d7, v88
	;; [unrolled: 1-line block ×3, first 2 shown]
	v_fmac_f32_e32 v9, 0.5, v5
	v_add_f32_e32 v6, v11, v12
	v_add_f32_e32 v5, v13, v25
	;; [unrolled: 1-line block ×3, first 2 shown]
	v_sub_f32_e32 v12, v11, v12
	v_sub_f32_e32 v11, v13, v25
	;; [unrolled: 1-line block ×3, first 2 shown]
	v_add_f32_e32 v24, v2, v31
	v_add_f32_e32 v28, v24, v15
	;; [unrolled: 1-line block ×3, first 2 shown]
	v_fma_f32 v2, -0.5, v24, v2
	v_add_f32_e32 v0, v10, v8
	v_add_f32_e32 v4, v35, v9
	;; [unrolled: 1-line block ×3, first 2 shown]
	v_sub_f32_e32 v8, v10, v8
	v_sub_f32_e32 v10, v35, v9
	v_sub_f32_e32 v9, v36, v29
	v_sub_f32_e32 v24, v26, v32
	v_mov_b32_e32 v29, v2
	v_fmac_f32_e32 v29, 0xbf5db3d7, v24
	v_fmac_f32_e32 v2, 0x3f5db3d7, v24
	v_add_f32_e32 v24, v3, v26
	v_add_f32_e32 v35, v24, v32
	;; [unrolled: 1-line block ×3, first 2 shown]
	v_fmac_f32_e32 v3, -0.5, v24
	v_sub_f32_e32 v15, v31, v15
	v_mov_b32_e32 v31, v3
	v_fmac_f32_e32 v31, 0x3f5db3d7, v15
	v_fmac_f32_e32 v3, 0xbf5db3d7, v15
	v_add_f32_e32 v15, v40, v27
	v_add_f32_e32 v32, v15, v33
	;; [unrolled: 1-line block ×3, first 2 shown]
	v_fmac_f32_e32 v40, -0.5, v15
	v_sub_f32_e32 v15, v14, v34
	v_mov_b32_e32 v25, v40
	v_fmac_f32_e32 v25, 0xbf5db3d7, v15
	v_fmac_f32_e32 v40, 0x3f5db3d7, v15
	v_add_f32_e32 v15, v30, v14
	v_add_f32_e32 v14, v14, v34
	v_fmac_f32_e32 v30, -0.5, v14
	v_sub_f32_e32 v14, v27, v33
	v_mov_b32_e32 v27, v30
	v_fmac_f32_e32 v27, 0x3f5db3d7, v14
	v_fmac_f32_e32 v30, 0xbf5db3d7, v14
	v_add_f32_e32 v36, v15, v34
	v_mul_f32_e32 v33, 0xbf5db3d7, v27
	v_mul_f32_e32 v34, 0xbf5db3d7, v30
	v_mul_f32_e32 v37, 0.5, v27
	v_mul_f32_e32 v38, -0.5, v30
	v_fmac_f32_e32 v33, 0.5, v25
	v_fmac_f32_e32 v34, -0.5, v40
	v_fmac_f32_e32 v37, 0x3f5db3d7, v25
	v_fmac_f32_e32 v38, 0x3f5db3d7, v40
	v_add_f32_e32 v14, v28, v32
	v_add_f32_e32 v24, v29, v33
	;; [unrolled: 1-line block ×6, first 2 shown]
	v_sub_f32_e32 v28, v28, v32
	v_sub_f32_e32 v30, v29, v33
	;; [unrolled: 1-line block ×6, first 2 shown]
	s_barrier
	ds_write2_b64 v177, v[0:1], v[4:5] offset1:18
	ds_write2_b64 v177, v[6:7], v[8:9] offset0:36 offset1:54
	ds_write2_b64 v177, v[10:11], v[12:13] offset0:72 offset1:90
	ds_write2_b64 v178, v[14:15], v[24:25] offset1:18
	ds_write2_b64 v178, v[26:27], v[28:29] offset0:36 offset1:54
	ds_write2_b64 v178, v[30:31], v[2:3] offset0:72 offset1:90
	s_and_saveexec_b64 s[4:5], s[2:3]
	s_cbranch_execz .LBB0_29
; %bb.28:
	v_mul_f32_e32 v0, v19, v84
	v_mul_f32_e32 v1, v23, v86
	v_fma_f32 v0, v18, v85, -v0
	v_fma_f32 v2, v22, v87, -v1
	v_mul_f32_e32 v10, v21, v81
	v_mul_f32_e32 v11, v144, v83
	v_add_f32_e32 v1, v2, v0
	v_mul_f32_e32 v9, v17, v79
	v_fmac_f32_e32 v10, v20, v80
	v_fmac_f32_e32 v11, v143, v82
	v_fma_f32 v6, -0.5, v1, v77
	v_fmac_f32_e32 v9, v16, v78
	v_add_f32_e32 v1, v10, v11
	v_fma_f32 v12, -0.5, v1, v9
	v_mul_f32_e32 v1, v21, v80
	v_fma_f32 v5, v20, v81, -v1
	v_mul_f32_e32 v1, v144, v82
	v_fma_f32 v13, v143, v83, -v1
	;; [unrolled: 2-line block ×3, first 2 shown]
	v_add_f32_e32 v1, v5, v13
	v_mul_f32_e32 v4, v19, v85
	v_fma_f32 v17, -0.5, v1, v16
	v_fmac_f32_e32 v4, v18, v84
	v_sub_f32_e32 v18, v10, v11
	v_mov_b32_e32 v19, v17
	v_mul_f32_e32 v7, v23, v87
	v_sub_f32_e32 v14, v5, v13
	v_mov_b32_e32 v15, v12
	v_fmac_f32_e32 v19, 0xbf5db3d7, v18
	v_fmac_f32_e32 v7, v22, v86
	;; [unrolled: 1-line block ×3, first 2 shown]
	v_mul_f32_e32 v20, -0.5, v19
	v_fmac_f32_e32 v17, 0x3f5db3d7, v18
	v_mul_f32_e32 v19, 0xbf5db3d7, v19
	v_sub_f32_e32 v3, v4, v7
	v_fmac_f32_e32 v20, 0x3f5db3d7, v15
	v_fmac_f32_e32 v12, 0xbf5db3d7, v14
	v_mul_f32_e32 v14, 0.5, v17
	v_add_f32_e32 v5, v5, v16
	v_add_f32_e32 v16, v7, v4
	v_fmac_f32_e32 v19, -0.5, v15
	v_mul_f32_e32 v15, 0xbf5db3d7, v17
	v_add_f32_e32 v4, v4, v76
	v_fmac_f32_e32 v14, 0x3f5db3d7, v12
	v_add_f32_e32 v18, v0, v77
	v_fmac_f32_e32 v15, 0.5, v12
	v_add_f32_e32 v12, v7, v4
	v_add_f32_e32 v4, v10, v9
	v_mov_b32_e32 v8, v6
	v_add_f32_e32 v18, v2, v18
	v_fma_f32 v16, -0.5, v16, v76
	v_sub_f32_e32 v2, v0, v2
	v_add_f32_e32 v10, v11, v4
	s_movk_i32 s2, 0x6c
	v_fmac_f32_e32 v8, 0xbf5db3d7, v3
	v_fmac_f32_e32 v6, 0x3f5db3d7, v3
	v_add_f32_e32 v13, v13, v5
	v_mov_b32_e32 v21, v16
	v_fmac_f32_e32 v16, 0xbf5db3d7, v2
	v_sub_f32_e32 v4, v12, v10
	v_add_f32_e32 v10, v12, v10
	v_mad_legacy_u16 v12, v166, s2, v167
	v_sub_f32_e32 v1, v8, v20
	v_fmac_f32_e32 v21, 0x3f5db3d7, v2
	v_add_f32_e32 v7, v8, v20
	v_add_f32_e32 v9, v6, v14
	v_add_f32_e32 v11, v18, v13
	v_add_f32_e32 v8, v16, v15
	v_lshlrev_b32_e32 v12, 3, v12
	v_sub_f32_e32 v3, v6, v14
	v_sub_f32_e32 v5, v18, v13
	;; [unrolled: 1-line block ×4, first 2 shown]
	v_add_f32_e32 v6, v21, v19
	ds_write2_b64 v12, v[10:11], v[8:9] offset1:18
	ds_write2_b64 v12, v[6:7], v[4:5] offset0:36 offset1:54
	ds_write2_b64 v12, v[2:3], v[0:1] offset0:72 offset1:90
.LBB0_29:
	s_or_b64 exec, exec, s[4:5]
	s_waitcnt lgkmcnt(0)
	s_barrier
	ds_read2_b64 v[3:6], v161 offset1:108
	v_add_u32_e32 v2, 0x400, v161
	ds_read2_b64 v[7:10], v2 offset0:88 offset1:196
	v_add_u32_e32 v37, 0xc00, v161
	ds_read2_b64 v[11:14], v37 offset0:48 offset1:156
	s_waitcnt lgkmcnt(2)
	v_mul_f32_e32 v41, v69, v6
	v_fmac_f32_e32 v41, v68, v5
	v_mul_f32_e32 v5, v69, v5
	v_fma_f32 v5, v68, v6, -v5
	s_waitcnt lgkmcnt(1)
	v_mul_f32_e32 v6, v71, v8
	v_fmac_f32_e32 v6, v70, v7
	v_mul_f32_e32 v7, v71, v7
	v_add_u32_e32 v38, 0x1000, v161
	v_fma_f32 v7, v70, v8, -v7
	v_mul_f32_e32 v8, v61, v10
	ds_read2_b64 v[15:18], v38 offset0:136 offset1:244
	v_fmac_f32_e32 v8, v60, v9
	v_mul_f32_e32 v9, v61, v9
	v_fma_f32 v9, v60, v10, -v9
	s_waitcnt lgkmcnt(1)
	v_mul_f32_e32 v10, v63, v12
	v_fmac_f32_e32 v10, v62, v11
	v_mul_f32_e32 v11, v63, v11
	v_add_u32_e32 v0, 0x1800, v161
	v_fma_f32 v11, v62, v12, -v11
	v_mul_f32_e32 v12, v53, v14
	ds_read2_b64 v[19:22], v0 offset0:96 offset1:204
	;; [unrolled: 11-line block ×5, first 2 shown]
	v_fmac_f32_e32 v24, v64, v25
	v_mul_f32_e32 v25, v65, v25
	v_fma_f32 v25, v64, v26, -v25
	s_waitcnt lgkmcnt(1)
	v_mul_f32_e32 v26, v67, v28
	v_fmac_f32_e32 v26, v66, v27
	v_mul_f32_e32 v27, v67, v27
	v_fma_f32 v27, v66, v28, -v27
	v_mul_f32_e32 v28, v57, v30
	v_fmac_f32_e32 v28, v56, v29
	v_mul_f32_e32 v29, v57, v29
	v_fma_f32 v29, v56, v30, -v29
	s_waitcnt lgkmcnt(0)
	v_mul_f32_e32 v30, v59, v32
	v_fmac_f32_e32 v30, v58, v31
	v_mul_f32_e32 v31, v59, v31
	v_fma_f32 v31, v58, v32, -v31
	v_mul_f32_e32 v32, v152, v34
	v_fmac_f32_e32 v32, v151, v33
	v_mul_f32_e32 v33, v152, v33
	v_sub_f32_e32 v18, v3, v18
	v_sub_f32_e32 v19, v4, v19
	;; [unrolled: 1-line block ×4, first 2 shown]
	v_fma_f32 v33, v151, v34, -v33
	v_fma_f32 v10, v10, 2.0, -v26
	v_fma_f32 v11, v11, 2.0, -v27
	v_sub_f32_e32 v22, v6, v22
	v_sub_f32_e32 v23, v7, v23
	;; [unrolled: 1-line block ×8, first 2 shown]
	v_add_f32_e32 v27, v18, v27
	v_sub_f32_e32 v26, v19, v26
	v_fma_f32 v3, v3, 2.0, -v18
	v_fma_f32 v6, v6, 2.0, -v22
	;; [unrolled: 1-line block ×4, first 2 shown]
	v_sub_f32_e32 v21, v5, v21
	v_fma_f32 v34, v41, 2.0, -v20
	v_sub_f32_e32 v29, v13, v29
	v_fma_f32 v12, v12, 2.0, -v28
	v_sub_f32_e32 v25, v9, v25
	v_fma_f32 v8, v8, 2.0, -v24
	v_sub_f32_e32 v33, v17, v33
	v_fma_f32 v16, v16, 2.0, -v32
	v_fma_f32 v18, v18, 2.0, -v27
	v_add_f32_e32 v31, v22, v31
	v_sub_f32_e32 v30, v23, v30
	v_mov_b32_e32 v48, v26
	v_fma_f32 v4, v4, 2.0, -v19
	v_fma_f32 v7, v7, 2.0, -v23
	;; [unrolled: 1-line block ×6, first 2 shown]
	v_sub_f32_e32 v10, v3, v10
	v_fma_f32 v19, v19, 2.0, -v26
	v_sub_f32_e32 v14, v6, v14
	v_fma_f32 v22, v22, 2.0, -v31
	v_sub_f32_e32 v12, v34, v12
	v_sub_f32_e32 v16, v8, v16
	v_mov_b32_e32 v43, v18
	v_mov_b32_e32 v47, v27
	v_fmac_f32_e32 v48, 0x3f3504f3, v30
	v_sub_f32_e32 v11, v4, v11
	v_fma_f32 v3, v3, 2.0, -v10
	v_sub_f32_e32 v15, v7, v15
	v_fma_f32 v6, v6, 2.0, -v14
	v_fma_f32 v23, v23, 2.0, -v30
	v_sub_f32_e32 v13, v5, v13
	v_fma_f32 v34, v34, 2.0, -v12
	v_add_f32_e32 v29, v20, v29
	v_sub_f32_e32 v17, v9, v17
	v_fma_f32 v8, v8, 2.0, -v16
	v_fmac_f32_e32 v43, 0xbf3504f3, v22
	v_mov_b32_e32 v44, v19
	v_fmac_f32_e32 v47, 0x3f3504f3, v31
	v_fmac_f32_e32 v48, 0xbf3504f3, v31
	v_fma_f32 v4, v4, 2.0, -v11
	v_fma_f32 v7, v7, 2.0, -v15
	v_fma_f32 v5, v5, 2.0, -v13
	v_sub_f32_e32 v28, v21, v28
	v_fma_f32 v20, v20, 2.0, -v29
	v_fma_f32 v9, v9, 2.0, -v17
	v_add_f32_e32 v33, v24, v33
	v_sub_f32_e32 v41, v3, v6
	v_fmac_f32_e32 v44, 0xbf3504f3, v23
	v_fmac_f32_e32 v43, 0x3f3504f3, v23
	v_sub_f32_e32 v46, v11, v14
	v_fmac_f32_e32 v47, 0x3f3504f3, v30
	v_fma_f32 v23, v26, 2.0, -v48
	v_sub_f32_e32 v26, v34, v8
	v_fma_f32 v21, v21, 2.0, -v28
	v_sub_f32_e32 v32, v25, v32
	;; [unrolled: 2-line block ×3, first 2 shown]
	v_fma_f32 v6, v3, 2.0, -v41
	v_fmac_f32_e32 v44, 0xbf3504f3, v22
	v_add_f32_e32 v45, v10, v15
	v_fma_f32 v15, v11, 2.0, -v46
	v_fma_f32 v22, v27, 2.0, -v47
	v_sub_f32_e32 v27, v5, v9
	v_fma_f32 v3, v34, 2.0, -v26
	v_mov_b32_e32 v30, v20
	v_add_f32_e32 v34, v12, v17
	v_sub_f32_e32 v49, v13, v16
	v_mov_b32_e32 v51, v28
	v_fma_f32 v25, v25, 2.0, -v32
	v_fma_f32 v7, v4, 2.0, -v42
	;; [unrolled: 1-line block ×4, first 2 shown]
	v_fmac_f32_e32 v30, 0xbf3504f3, v24
	v_mov_b32_e32 v31, v21
	v_fma_f32 v16, v12, 2.0, -v34
	v_fma_f32 v13, v13, 2.0, -v49
	v_mov_b32_e32 v50, v29
	v_fmac_f32_e32 v51, 0x3f3504f3, v32
	v_mov_b32_e32 v12, v15
	v_fma_f32 v18, v18, 2.0, -v43
	v_fmac_f32_e32 v31, 0xbf3504f3, v25
	v_fmac_f32_e32 v30, 0x3f3504f3, v25
	;; [unrolled: 1-line block ×4, first 2 shown]
	v_sub_f32_e32 v3, v6, v3
	v_sub_f32_e32 v4, v7, v4
	v_mov_b32_e32 v11, v14
	v_fmac_f32_e32 v12, 0xbf3504f3, v13
	v_fma_f32 v19, v19, 2.0, -v44
	v_fmac_f32_e32 v31, 0xbf3504f3, v24
	v_fma_f32 v9, v20, 2.0, -v30
	;; [unrolled: 2-line block ×3, first 2 shown]
	v_fma_f32 v5, v6, 2.0, -v3
	v_fma_f32 v6, v7, 2.0, -v4
	v_mov_b32_e32 v7, v18
	v_fmac_f32_e32 v11, 0xbf3504f3, v16
	v_fmac_f32_e32 v12, 0xbf3504f3, v16
	v_mov_b32_e32 v16, v23
	v_fma_f32 v10, v21, 2.0, -v31
	v_fma_f32 v17, v29, 2.0, -v50
	v_fmac_f32_e32 v7, 0xbf6c835e, v9
	v_mov_b32_e32 v8, v19
	v_fmac_f32_e32 v16, 0xbec3ef15, v20
	v_fmac_f32_e32 v8, 0xbf6c835e, v10
	;; [unrolled: 1-line block ×5, first 2 shown]
	v_fma_f32 v9, v18, 2.0, -v7
	v_fma_f32 v18, v23, 2.0, -v16
	v_mov_b32_e32 v23, v43
	v_fmac_f32_e32 v11, 0x3f3504f3, v13
	v_fmac_f32_e32 v23, 0x3ec3ef15, v30
	v_mov_b32_e32 v24, v44
	v_fma_f32 v10, v19, 2.0, -v8
	v_fma_f32 v13, v14, 2.0, -v11
	;; [unrolled: 1-line block ×3, first 2 shown]
	v_mov_b32_e32 v15, v22
	v_add_f32_e32 v19, v41, v27
	v_fmac_f32_e32 v24, 0x3ec3ef15, v31
	v_fmac_f32_e32 v23, 0x3f6c835e, v31
	v_mov_b32_e32 v27, v45
	v_mov_b32_e32 v28, v46
	;; [unrolled: 1-line block ×4, first 2 shown]
	v_fmac_f32_e32 v15, 0xbec3ef15, v17
	v_fmac_f32_e32 v27, 0x3f3504f3, v34
	;; [unrolled: 1-line block ×5, first 2 shown]
	v_mad_u64_u32 v[35:36], s[2:3], s10, v128, 0
	v_fmac_f32_e32 v15, 0x3f6c835e, v20
	v_sub_f32_e32 v20, v42, v26
	v_fmac_f32_e32 v24, 0xbf6c835e, v30
	v_fmac_f32_e32 v27, 0x3f3504f3, v49
	v_fmac_f32_e32 v28, 0xbf3504f3, v34
	v_fmac_f32_e32 v31, 0x3ec3ef15, v51
	v_fmac_f32_e32 v32, 0xbec3ef15, v50
	v_fma_f32 v17, v22, 2.0, -v15
	v_fma_f32 v21, v41, 2.0, -v19
	;; [unrolled: 1-line block ×9, first 2 shown]
	ds_write2_b64 v161, v[5:6], v[9:10] offset1:108
	ds_write2_b64 v2, v[13:14], v[17:18] offset0:88 offset1:196
	ds_write2_b64 v37, v[21:22], v[25:26] offset0:48 offset1:156
	;; [unrolled: 1-line block ×7, first 2 shown]
	s_waitcnt lgkmcnt(0)
	s_barrier
	ds_read2_b64 v[3:6], v161 offset1:108
	v_mov_b32_e32 v7, v36
	v_mad_u64_u32 v[7:8], s[2:3], s11, v128, v[7:8]
	s_mov_b32 s2, 0xbda12f68
	s_waitcnt lgkmcnt(0)
	v_mul_f32_e32 v8, v132, v4
	v_fmac_f32_e32 v8, v131, v3
	v_cvt_f64_f32_e32 v[8:9], v8
	s_mov_b32 s3, 0x3f42f684
	v_mad_u64_u32 v[11:12], s[4:5], s8, v165, 0
	v_mul_f64 v[8:9], v[8:9], s[2:3]
	v_mul_f32_e32 v3, v132, v3
	v_fma_f32 v3, v131, v4, -v3
	v_cvt_f64_f32_e32 v[3:4], v3
	v_mov_b32_e32 v36, v7
	v_mov_b32_e32 v7, v12
	;; [unrolled: 1-line block ×3, first 2 shown]
	v_mul_f64 v[3:4], v[3:4], s[2:3]
	v_mad_u64_u32 v[12:13], s[4:5], s9, v165, v[7:8]
	v_cvt_f32_f64_e32 v13, v[8:9]
	ds_read2_b64 v[7:10], v37 offset0:48 offset1:192
	v_lshlrev_b64 v[11:12], 3, v[11:12]
	s_mul_i32 s4, s9, 0x240
	s_mul_hi_u32 s5, s8, 0x240
	v_cvt_f32_f64_e32 v14, v[3:4]
	s_waitcnt lgkmcnt(0)
	v_mul_f32_e32 v15, v136, v10
	v_fmac_f32_e32 v15, v135, v9
	v_mul_f32_e32 v9, v136, v9
	v_fma_f32 v9, v135, v10, -v9
	v_cvt_f64_f32_e32 v[15:16], v15
	v_cvt_f64_f32_e32 v[9:10], v9
	v_lshlrev_b64 v[3:4], 3, v[35:36]
	s_add_i32 s5, s5, s4
	v_add_co_u32_e32 v21, vcc, s6, v3
	v_addc_co_u32_e32 v22, vcc, v17, v4, vcc
	v_mul_f64 v[3:4], v[15:16], s[2:3]
	v_mul_f64 v[9:10], v[9:10], s[2:3]
	v_add_co_u32_e32 v15, vcc, v21, v11
	v_addc_co_u32_e32 v16, vcc, v22, v12, vcc
	global_store_dwordx2 v[15:16], v[13:14], off
	v_mad_u64_u32 v[17:18], s[6:7], s8, v164, 0
	v_cvt_f32_f64_e32 v3, v[3:4]
	v_cvt_f32_f64_e32 v4, v[9:10]
	ds_read2_b64 v[9:12], v39 offset0:128 offset1:236
	s_mul_i32 s4, s8, 0x240
	s_lshl_b64 s[4:5], s[4:5], 3
	v_mov_b32_e32 v23, s5
	v_add_co_u32_e32 v15, vcc, s4, v15
	s_waitcnt lgkmcnt(0)
	v_mul_f32_e32 v13, v130, v10
	v_fmac_f32_e32 v13, v129, v9
	v_mul_f32_e32 v9, v130, v9
	v_fma_f32 v9, v129, v10, -v9
	v_cvt_f64_f32_e32 v[13:14], v13
	v_cvt_f64_f32_e32 v[9:10], v9
	v_mad_u64_u32 v[18:19], s[6:7], s9, v164, v[18:19]
	v_mul_f64 v[13:14], v[13:14], s[2:3]
	v_mul_f64 v[9:10], v[9:10], s[2:3]
	v_addc_co_u32_e32 v16, vcc, v16, v23, vcc
	global_store_dwordx2 v[15:16], v[3:4], off
	v_mul_f32_e32 v3, v138, v6
	v_fmac_f32_e32 v3, v137, v5
	s_movk_i32 s10, 0x2000
	v_cvt_f32_f64_e32 v13, v[13:14]
	v_cvt_f32_f64_e32 v14, v[9:10]
	v_lshlrev_b64 v[9:10], 3, v[17:18]
	v_cvt_f64_f32_e32 v[17:18], v3
	v_mul_f32_e32 v3, v138, v5
	v_fma_f32 v3, v137, v6, -v3
	v_cvt_f64_f32_e32 v[19:20], v3
	v_add_u32_e32 v3, 0x1400, v161
	ds_read2_b64 v[3:6], v3 offset0:44 offset1:152
	v_add_co_u32_e32 v9, vcc, v21, v9
	v_addc_co_u32_e32 v10, vcc, v22, v10, vcc
	global_store_dwordx2 v[9:10], v[13:14], off
	v_mul_f64 v[9:10], v[17:18], s[2:3]
	s_waitcnt lgkmcnt(0)
	v_mul_f32_e32 v17, v134, v4
	v_fmac_f32_e32 v17, v133, v3
	v_mul_f32_e32 v3, v134, v3
	v_mul_f64 v[13:14], v[19:20], s[2:3]
	v_fma_f32 v3, v133, v4, -v3
	v_cvt_f64_f32_e32 v[3:4], v3
	v_cvt_f64_f32_e32 v[17:18], v17
	v_cvt_f32_f64_e32 v9, v[9:10]
	v_mov_b32_e32 v10, 0xfffff160
	v_mul_f64 v[3:4], v[3:4], s[2:3]
	v_mul_f64 v[17:18], v[17:18], s[2:3]
	v_mad_u64_u32 v[15:16], s[6:7], s8, v10, v[15:16]
	v_cvt_f32_f64_e32 v10, v[13:14]
	s_mul_i32 s6, s9, 0xfffff160
	s_sub_i32 s6, s6, s8
	v_add_u32_e32 v16, s6, v16
	global_store_dwordx2 v[15:16], v[9:10], off
	v_mul_f32_e32 v9, v127, v11
	v_cvt_f32_f64_e32 v14, v[3:4]
	v_mul_f32_e32 v3, v127, v12
	v_fma_f32 v9, v126, v12, -v9
	v_cvt_f32_f64_e32 v13, v[17:18]
	v_fmac_f32_e32 v3, v126, v11
	v_cvt_f64_f32_e32 v[17:18], v9
	ds_read2_b64 v[9:12], v2 offset0:88 offset1:196
	v_cvt_f64_f32_e32 v[3:4], v3
	v_add_co_u32_e32 v15, vcc, s4, v15
	v_mul_f64 v[17:18], v[17:18], s[2:3]
	v_mul_f64 v[2:3], v[3:4], s[2:3]
	s_waitcnt lgkmcnt(0)
	v_mul_f32_e32 v4, v125, v10
	v_fmac_f32_e32 v4, v124, v9
	v_cvt_f64_f32_e32 v[19:20], v4
	v_mul_f32_e32 v4, v125, v9
	v_fma_f32 v4, v124, v10, -v4
	v_cvt_f64_f32_e32 v[9:10], v4
	v_addc_co_u32_e32 v16, vcc, v16, v23, vcc
	global_store_dwordx2 v[15:16], v[13:14], off
	v_mul_f64 v[13:14], v[19:20], s[2:3]
	v_mul_f64 v[9:10], v[9:10], s[2:3]
	v_cvt_f32_f64_e32 v2, v[2:3]
	v_cvt_f32_f64_e32 v3, v[17:18]
	v_add_co_u32_e32 v15, vcc, s4, v15
	v_addc_co_u32_e32 v16, vcc, v16, v23, vcc
	global_store_dwordx2 v[15:16], v[2:3], off
	v_mul_f32_e32 v2, v123, v6
	v_fmac_f32_e32 v2, v122, v5
	v_cvt_f32_f64_e32 v13, v[13:14]
	v_cvt_f32_f64_e32 v14, v[9:10]
	v_cvt_f64_f32_e32 v[9:10], v2
	v_mul_f32_e32 v2, v123, v5
	v_fma_f32 v2, v122, v6, -v2
	v_cvt_f64_f32_e32 v[5:6], v2
	ds_read2_b64 v[1:4], v1 offset0:88 offset1:196
	s_mul_hi_u32 s7, s8, 0xfffffbec
	s_mul_i32 s6, s9, 0xfffffbec
	s_sub_i32 s7, s7, s8
	v_mul_f64 v[9:10], v[9:10], s[2:3]
	s_waitcnt lgkmcnt(0)
	v_mul_f32_e32 v17, v121, v2
	v_fmac_f32_e32 v17, v120, v1
	v_mul_f32_e32 v1, v121, v1
	v_mul_f64 v[5:6], v[5:6], s[2:3]
	v_fma_f32 v1, v120, v2, -v1
	s_add_i32 s7, s7, s6
	s_mul_i32 s6, s8, 0xfffffbec
	v_cvt_f64_f32_e32 v[17:18], v17
	v_cvt_f64_f32_e32 v[1:2], v1
	s_lshl_b64 s[6:7], s[6:7], 3
	v_mov_b32_e32 v19, s7
	v_add_co_u32_e32 v15, vcc, s6, v15
	v_addc_co_u32_e32 v16, vcc, v16, v19, vcc
	global_store_dwordx2 v[15:16], v[13:14], off
	v_mul_f64 v[13:14], v[17:18], s[2:3]
	v_mul_f64 v[1:2], v[1:2], s[2:3]
	v_cvt_f32_f64_e32 v9, v[9:10]
	v_cvt_f32_f64_e32 v10, v[5:6]
	v_add_co_u32_e32 v5, vcc, s4, v15
	v_addc_co_u32_e32 v6, vcc, v16, v23, vcc
	global_store_dwordx2 v[5:6], v[9:10], off
	v_mul_f32_e32 v9, v119, v11
	v_cvt_f32_f64_e32 v13, v[13:14]
	v_cvt_f32_f64_e32 v14, v[1:2]
	v_mul_f32_e32 v1, v119, v12
	v_fma_f32 v9, v118, v12, -v9
	v_fmac_f32_e32 v1, v118, v11
	v_cvt_f64_f32_e32 v[15:16], v9
	ds_read2_b64 v[9:12], v0 offset0:132 offset1:240
	v_cvt_f64_f32_e32 v[1:2], v1
	v_add_co_u32_e32 v5, vcc, s4, v5
	v_mul_f64 v[15:16], v[15:16], s[2:3]
	v_mul_f64 v[0:1], v[1:2], s[2:3]
	s_waitcnt lgkmcnt(0)
	v_mul_f32_e32 v2, v117, v10
	v_fmac_f32_e32 v2, v116, v9
	v_cvt_f64_f32_e32 v[17:18], v2
	v_mul_f32_e32 v2, v117, v9
	v_fma_f32 v2, v116, v10, -v2
	v_cvt_f64_f32_e32 v[9:10], v2
	v_addc_co_u32_e32 v6, vcc, v6, v23, vcc
	v_cvt_f32_f64_e32 v0, v[0:1]
	v_mul_f64 v[9:10], v[9:10], s[2:3]
	v_cvt_f32_f64_e32 v1, v[15:16]
	global_store_dwordx2 v[5:6], v[13:14], off
	v_add_co_u32_e32 v5, vcc, s6, v5
	v_mul_f32_e32 v2, v115, v4
	v_addc_co_u32_e32 v6, vcc, v6, v19, vcc
	v_fmac_f32_e32 v2, v114, v3
	v_mul_f64 v[13:14], v[17:18], s[2:3]
	global_store_dwordx2 v[5:6], v[0:1], off
	v_cvt_f32_f64_e32 v1, v[9:10]
	v_cvt_f64_f32_e32 v[9:10], v2
	v_mul_f32_e32 v2, v115, v3
	v_fma_f32 v2, v114, v4, -v2
	v_cvt_f64_f32_e32 v[2:3], v2
	v_mul_f64 v[9:10], v[9:10], s[2:3]
	v_add_co_u32_e32 v4, vcc, s4, v5
	v_addc_co_u32_e32 v5, vcc, v6, v23, vcc
	v_mul_f32_e32 v6, v113, v8
	v_fmac_f32_e32 v6, v112, v7
	v_cvt_f32_f64_e32 v0, v[13:14]
	v_mul_f64 v[2:3], v[2:3], s[2:3]
	v_cvt_f64_f32_e32 v[13:14], v6
	v_mul_f32_e32 v6, v113, v7
	v_fma_f32 v6, v112, v8, -v6
	v_cvt_f64_f32_e32 v[6:7], v6
	global_store_dwordx2 v[4:5], v[0:1], off
	v_cvt_f32_f64_e32 v0, v[9:10]
	v_mul_f64 v[8:9], v[13:14], s[2:3]
	v_mul_f64 v[6:7], v[6:7], s[2:3]
	v_cvt_f32_f64_e32 v1, v[2:3]
	v_add_co_u32_e32 v2, vcc, s4, v4
	v_mul_f32_e32 v4, v111, v12
	v_addc_co_u32_e32 v3, vcc, v5, v23, vcc
	v_fmac_f32_e32 v4, v110, v11
	global_store_dwordx2 v[2:3], v[0:1], off
	v_cvt_f32_f64_e32 v0, v[8:9]
	v_cvt_f64_f32_e32 v[4:5], v4
	ds_read_b64 v[8:9], v161 offset:12672
	v_cvt_f32_f64_e32 v1, v[6:7]
	v_mul_f32_e32 v6, v111, v11
	v_mul_f64 v[4:5], v[4:5], s[2:3]
	v_fma_f32 v6, v110, v12, -v6
	s_waitcnt lgkmcnt(0)
	v_mul_f32_e32 v10, v109, v9
	v_cvt_f64_f32_e32 v[6:7], v6
	v_fmac_f32_e32 v10, v108, v8
	v_mul_f32_e32 v8, v109, v8
	v_fma_f32 v8, v108, v9, -v8
	v_cvt_f64_f32_e32 v[10:11], v10
	v_cvt_f64_f32_e32 v[8:9], v8
	v_add_co_u32_e32 v2, vcc, s6, v2
	v_mul_f64 v[6:7], v[6:7], s[2:3]
	v_addc_co_u32_e32 v3, vcc, v3, v19, vcc
	global_store_dwordx2 v[2:3], v[0:1], off
	v_cvt_f32_f64_e32 v0, v[4:5]
	v_mul_f64 v[4:5], v[10:11], s[2:3]
	v_mul_f64 v[8:9], v[8:9], s[2:3]
	v_add_co_u32_e32 v2, vcc, s4, v2
	v_cvt_f32_f64_e32 v1, v[6:7]
	v_addc_co_u32_e32 v3, vcc, v3, v23, vcc
	v_cvt_f32_f64_e32 v4, v[4:5]
	v_cvt_f32_f64_e32 v5, v[8:9]
	global_store_dwordx2 v[2:3], v[0:1], off
	v_add_co_u32_e32 v0, vcc, s4, v2
	v_addc_co_u32_e32 v1, vcc, v3, v23, vcc
	global_store_dwordx2 v[0:1], v[4:5], off
	s_and_b64 exec, exec, s[0:1]
	s_cbranch_execz .LBB0_31
; %bb.30:
	v_add_co_u32_e32 v2, vcc, 0x1000, v162
	v_addc_co_u32_e32 v3, vcc, 0, v163, vcc
	global_load_dwordx2 v[6:7], v[2:3], off offset:224
	v_add_u32_e32 v2, 0xe0, v161
	ds_read2st64_b64 v[2:5], v2 offset0:8 offset1:17
	v_mov_b32_e32 v10, s7
	s_movk_i32 s0, 0x3000
	s_waitcnt vmcnt(0) lgkmcnt(0)
	v_mul_f32_e32 v8, v3, v7
	v_mul_f32_e32 v7, v2, v7
	v_fmac_f32_e32 v8, v2, v6
	v_fma_f32 v6, v6, v3, -v7
	v_cvt_f64_f32_e32 v[2:3], v8
	v_cvt_f64_f32_e32 v[6:7], v6
	v_add_co_u32_e32 v8, vcc, s10, v162
	v_mul_f64 v[2:3], v[2:3], s[2:3]
	v_mul_f64 v[6:7], v[6:7], s[2:3]
	v_addc_co_u32_e32 v9, vcc, 0, v163, vcc
	v_add_co_u32_e32 v0, vcc, s6, v0
	v_addc_co_u32_e32 v1, vcc, v1, v10, vcc
	v_cvt_f32_f64_e32 v2, v[2:3]
	v_cvt_f32_f64_e32 v3, v[6:7]
	global_store_dwordx2 v[0:1], v[2:3], off
	global_load_dwordx2 v[2:3], v[8:9], off offset:736
	v_mov_b32_e32 v8, s5
	s_waitcnt vmcnt(0)
	v_mul_f32_e32 v6, v5, v3
	v_mul_f32_e32 v3, v4, v3
	v_fmac_f32_e32 v6, v4, v2
	v_fma_f32 v4, v2, v5, -v3
	v_cvt_f64_f32_e32 v[2:3], v6
	v_cvt_f64_f32_e32 v[4:5], v4
	v_add_co_u32_e32 v6, vcc, s0, v162
	v_mul_f64 v[2:3], v[2:3], s[2:3]
	v_mul_f64 v[4:5], v[4:5], s[2:3]
	v_addc_co_u32_e32 v7, vcc, 0, v163, vcc
	v_add_co_u32_e32 v0, vcc, s4, v0
	v_addc_co_u32_e32 v1, vcc, v1, v8, vcc
	v_cvt_f32_f64_e32 v2, v[2:3]
	v_cvt_f32_f64_e32 v3, v[4:5]
	ds_read_b64 v[4:5], v161 offset:13536
	global_store_dwordx2 v[0:1], v[2:3], off
	global_load_dwordx2 v[2:3], v[6:7], off offset:1248
	v_add_co_u32_e32 v0, vcc, s4, v0
	v_addc_co_u32_e32 v1, vcc, v1, v8, vcc
	s_waitcnt vmcnt(0) lgkmcnt(0)
	v_mul_f32_e32 v6, v5, v3
	v_mul_f32_e32 v3, v4, v3
	v_fmac_f32_e32 v6, v4, v2
	v_fma_f32 v4, v2, v5, -v3
	v_cvt_f64_f32_e32 v[2:3], v6
	v_cvt_f64_f32_e32 v[4:5], v4
	v_mul_f64 v[2:3], v[2:3], s[2:3]
	v_mul_f64 v[4:5], v[4:5], s[2:3]
	v_cvt_f32_f64_e32 v2, v[2:3]
	v_cvt_f32_f64_e32 v3, v[4:5]
	global_store_dwordx2 v[0:1], v[2:3], off
.LBB0_31:
	s_endpgm
	.section	.rodata,"a",@progbits
	.p2align	6, 0x0
	.amdhsa_kernel bluestein_single_fwd_len1728_dim1_sp_op_CI_CI
		.amdhsa_group_segment_fixed_size 13824
		.amdhsa_private_segment_fixed_size 0
		.amdhsa_kernarg_size 104
		.amdhsa_user_sgpr_count 6
		.amdhsa_user_sgpr_private_segment_buffer 1
		.amdhsa_user_sgpr_dispatch_ptr 0
		.amdhsa_user_sgpr_queue_ptr 0
		.amdhsa_user_sgpr_kernarg_segment_ptr 1
		.amdhsa_user_sgpr_dispatch_id 0
		.amdhsa_user_sgpr_flat_scratch_init 0
		.amdhsa_user_sgpr_private_segment_size 0
		.amdhsa_uses_dynamic_stack 0
		.amdhsa_system_sgpr_private_segment_wavefront_offset 0
		.amdhsa_system_sgpr_workgroup_id_x 1
		.amdhsa_system_sgpr_workgroup_id_y 0
		.amdhsa_system_sgpr_workgroup_id_z 0
		.amdhsa_system_sgpr_workgroup_info 0
		.amdhsa_system_vgpr_workitem_id 0
		.amdhsa_next_free_vgpr 210
		.amdhsa_next_free_sgpr 18
		.amdhsa_reserve_vcc 1
		.amdhsa_reserve_flat_scratch 0
		.amdhsa_float_round_mode_32 0
		.amdhsa_float_round_mode_16_64 0
		.amdhsa_float_denorm_mode_32 3
		.amdhsa_float_denorm_mode_16_64 3
		.amdhsa_dx10_clamp 1
		.amdhsa_ieee_mode 1
		.amdhsa_fp16_overflow 0
		.amdhsa_exception_fp_ieee_invalid_op 0
		.amdhsa_exception_fp_denorm_src 0
		.amdhsa_exception_fp_ieee_div_zero 0
		.amdhsa_exception_fp_ieee_overflow 0
		.amdhsa_exception_fp_ieee_underflow 0
		.amdhsa_exception_fp_ieee_inexact 0
		.amdhsa_exception_int_div_zero 0
	.end_amdhsa_kernel
	.text
.Lfunc_end0:
	.size	bluestein_single_fwd_len1728_dim1_sp_op_CI_CI, .Lfunc_end0-bluestein_single_fwd_len1728_dim1_sp_op_CI_CI
                                        ; -- End function
	.section	.AMDGPU.csdata,"",@progbits
; Kernel info:
; codeLenInByte = 14804
; NumSgprs: 22
; NumVgprs: 210
; ScratchSize: 0
; MemoryBound: 0
; FloatMode: 240
; IeeeMode: 1
; LDSByteSize: 13824 bytes/workgroup (compile time only)
; SGPRBlocks: 2
; VGPRBlocks: 52
; NumSGPRsForWavesPerEU: 22
; NumVGPRsForWavesPerEU: 210
; Occupancy: 1
; WaveLimiterHint : 1
; COMPUTE_PGM_RSRC2:SCRATCH_EN: 0
; COMPUTE_PGM_RSRC2:USER_SGPR: 6
; COMPUTE_PGM_RSRC2:TRAP_HANDLER: 0
; COMPUTE_PGM_RSRC2:TGID_X_EN: 1
; COMPUTE_PGM_RSRC2:TGID_Y_EN: 0
; COMPUTE_PGM_RSRC2:TGID_Z_EN: 0
; COMPUTE_PGM_RSRC2:TIDIG_COMP_CNT: 0
	.type	__hip_cuid_51757cfd3c57df92,@object ; @__hip_cuid_51757cfd3c57df92
	.section	.bss,"aw",@nobits
	.globl	__hip_cuid_51757cfd3c57df92
__hip_cuid_51757cfd3c57df92:
	.byte	0                               ; 0x0
	.size	__hip_cuid_51757cfd3c57df92, 1

	.ident	"AMD clang version 19.0.0git (https://github.com/RadeonOpenCompute/llvm-project roc-6.4.0 25133 c7fe45cf4b819c5991fe208aaa96edf142730f1d)"
	.section	".note.GNU-stack","",@progbits
	.addrsig
	.addrsig_sym __hip_cuid_51757cfd3c57df92
	.amdgpu_metadata
---
amdhsa.kernels:
  - .args:
      - .actual_access:  read_only
        .address_space:  global
        .offset:         0
        .size:           8
        .value_kind:     global_buffer
      - .actual_access:  read_only
        .address_space:  global
        .offset:         8
        .size:           8
        .value_kind:     global_buffer
      - .actual_access:  read_only
        .address_space:  global
        .offset:         16
        .size:           8
        .value_kind:     global_buffer
      - .actual_access:  read_only
        .address_space:  global
        .offset:         24
        .size:           8
        .value_kind:     global_buffer
      - .actual_access:  read_only
        .address_space:  global
        .offset:         32
        .size:           8
        .value_kind:     global_buffer
      - .offset:         40
        .size:           8
        .value_kind:     by_value
      - .address_space:  global
        .offset:         48
        .size:           8
        .value_kind:     global_buffer
      - .address_space:  global
        .offset:         56
        .size:           8
        .value_kind:     global_buffer
      - .address_space:  global
        .offset:         64
        .size:           8
        .value_kind:     global_buffer
      - .address_space:  global
        .offset:         72
        .size:           8
        .value_kind:     global_buffer
      - .offset:         80
        .size:           4
        .value_kind:     by_value
      - .address_space:  global
        .offset:         88
        .size:           8
        .value_kind:     global_buffer
      - .address_space:  global
        .offset:         96
        .size:           8
        .value_kind:     global_buffer
    .group_segment_fixed_size: 13824
    .kernarg_segment_align: 8
    .kernarg_segment_size: 104
    .language:       OpenCL C
    .language_version:
      - 2
      - 0
    .max_flat_workgroup_size: 108
    .name:           bluestein_single_fwd_len1728_dim1_sp_op_CI_CI
    .private_segment_fixed_size: 0
    .sgpr_count:     22
    .sgpr_spill_count: 0
    .symbol:         bluestein_single_fwd_len1728_dim1_sp_op_CI_CI.kd
    .uniform_work_group_size: 1
    .uses_dynamic_stack: false
    .vgpr_count:     210
    .vgpr_spill_count: 0
    .wavefront_size: 64
amdhsa.target:   amdgcn-amd-amdhsa--gfx906
amdhsa.version:
  - 1
  - 2
...

	.end_amdgpu_metadata
